;; amdgpu-corpus repo=pytorch/pytorch kind=compiled arch=gfx950 opt=O3
	.amdgcn_target "amdgcn-amd-amdhsa--gfx950"
	.amdhsa_code_object_version 6
	.section	.text._ZN7rocprim17ROCPRIM_304000_NS6detail28radix_sort_block_sort_kernelINS1_36wrapped_radix_sort_block_sort_configINS0_13kernel_configILj256ELj4ELj4294967295EEEtN2at4cuda3cub6detail10OpaqueTypeILi8EEEEELb1EPKtPtPKSB_PSB_NS0_19identity_decomposerEEEvT1_T2_T3_T4_jT5_jj,"axG",@progbits,_ZN7rocprim17ROCPRIM_304000_NS6detail28radix_sort_block_sort_kernelINS1_36wrapped_radix_sort_block_sort_configINS0_13kernel_configILj256ELj4ELj4294967295EEEtN2at4cuda3cub6detail10OpaqueTypeILi8EEEEELb1EPKtPtPKSB_PSB_NS0_19identity_decomposerEEEvT1_T2_T3_T4_jT5_jj,comdat
	.protected	_ZN7rocprim17ROCPRIM_304000_NS6detail28radix_sort_block_sort_kernelINS1_36wrapped_radix_sort_block_sort_configINS0_13kernel_configILj256ELj4ELj4294967295EEEtN2at4cuda3cub6detail10OpaqueTypeILi8EEEEELb1EPKtPtPKSB_PSB_NS0_19identity_decomposerEEEvT1_T2_T3_T4_jT5_jj ; -- Begin function _ZN7rocprim17ROCPRIM_304000_NS6detail28radix_sort_block_sort_kernelINS1_36wrapped_radix_sort_block_sort_configINS0_13kernel_configILj256ELj4ELj4294967295EEEtN2at4cuda3cub6detail10OpaqueTypeILi8EEEEELb1EPKtPtPKSB_PSB_NS0_19identity_decomposerEEEvT1_T2_T3_T4_jT5_jj
	.globl	_ZN7rocprim17ROCPRIM_304000_NS6detail28radix_sort_block_sort_kernelINS1_36wrapped_radix_sort_block_sort_configINS0_13kernel_configILj256ELj4ELj4294967295EEEtN2at4cuda3cub6detail10OpaqueTypeILi8EEEEELb1EPKtPtPKSB_PSB_NS0_19identity_decomposerEEEvT1_T2_T3_T4_jT5_jj
	.p2align	8
	.type	_ZN7rocprim17ROCPRIM_304000_NS6detail28radix_sort_block_sort_kernelINS1_36wrapped_radix_sort_block_sort_configINS0_13kernel_configILj256ELj4ELj4294967295EEEtN2at4cuda3cub6detail10OpaqueTypeILi8EEEEELb1EPKtPtPKSB_PSB_NS0_19identity_decomposerEEEvT1_T2_T3_T4_jT5_jj,@function
_ZN7rocprim17ROCPRIM_304000_NS6detail28radix_sort_block_sort_kernelINS1_36wrapped_radix_sort_block_sort_configINS0_13kernel_configILj256ELj4ELj4294967295EEEtN2at4cuda3cub6detail10OpaqueTypeILi8EEEEELb1EPKtPtPKSB_PSB_NS0_19identity_decomposerEEEvT1_T2_T3_T4_jT5_jj: ; @_ZN7rocprim17ROCPRIM_304000_NS6detail28radix_sort_block_sort_kernelINS1_36wrapped_radix_sort_block_sort_configINS0_13kernel_configILj256ELj4ELj4294967295EEEtN2at4cuda3cub6detail10OpaqueTypeILi8EEEEELb1EPKtPtPKSB_PSB_NS0_19identity_decomposerEEEvT1_T2_T3_T4_jT5_jj
; %bb.0:
	s_load_dword s4, s[0:1], 0x20
	s_load_dwordx8 s[36:43], s[0:1], 0x0
	s_lshl_b32 s28, s2, 10
	s_mov_b32 s29, 0
	v_and_b32_e32 v8, 0x3ff, v0
	s_waitcnt lgkmcnt(0)
	s_lshr_b32 s3, s4, 10
	s_cmp_lg_u32 s2, s3
	s_cselect_b64 s[30:31], -1, 0
	s_lshl_b64 s[34:35], s[28:29], 1
	v_mbcnt_lo_u32_b32 v1, -1, 0
	s_add_u32 s6, s36, s34
	v_mbcnt_hi_u32_b32 v1, -1, v1
	v_lshlrev_b32_e32 v9, 2, v8
	s_addc_u32 s7, s37, s35
	v_and_b32_e32 v12, 0x300, v9
	v_mov_b32_e32 v5, 0
	v_lshlrev_b32_e32 v4, 1, v1
	v_lshl_add_u64 v[2:3], s[6:7], 0, v[4:5]
	v_lshlrev_b32_e32 v4, 1, v12
	s_cmp_eq_u32 s2, s3
	v_lshl_add_u64 v[10:11], v[2:3], 0, v[4:5]
	v_lshlrev_b32_e32 v4, 3, v1
	v_lshlrev_b32_e32 v6, 3, v12
	v_add_u32_e32 v13, v1, v12
	s_cbranch_scc1 .LBB0_2
; %bb.1:
	s_lshl_b64 s[2:3], s[28:29], 3
	s_add_u32 s2, s40, s2
	s_addc_u32 s3, s41, s3
	v_lshl_add_u64 v[2:3], s[2:3], 0, v[4:5]
	v_mov_b32_e32 v7, v5
	v_lshl_add_u64 v[2:3], v[2:3], 0, v[6:7]
	global_load_ushort v14, v[10:11], off
	global_load_ushort v15, v[10:11], off offset:128
	global_load_ushort v16, v[10:11], off offset:256
	;; [unrolled: 1-line block ×3, first 2 shown]
	global_load_dwordx2 v[44:45], v[2:3], off
	global_load_dwordx2 v[46:47], v[2:3], off offset:512
	global_load_dwordx2 v[48:49], v[2:3], off offset:1024
	;; [unrolled: 1-line block ×3, first 2 shown]
	s_mov_b32 s2, 0x5040100
	v_add_u32_e32 v5, v1, v12
	v_add_u32_e32 v12, 64, v5
	s_waitcnt vmcnt(6)
	v_perm_b32 v2, v15, v14, s2
	v_add_u32_e32 v14, 0x80, v5
	s_waitcnt vmcnt(4)
	v_perm_b32 v3, v17, v16, s2
	v_add_u32_e32 v15, 0xc0, v5
	s_sub_i32 s33, s4, s28
	s_cbranch_execz .LBB0_3
	s_branch .LBB0_17
.LBB0_2:
                                        ; implicit-def: $vgpr2_vgpr3
                                        ; implicit-def: $vgpr44_vgpr45
                                        ; implicit-def: $vgpr46_vgpr47
                                        ; implicit-def: $vgpr48_vgpr49
                                        ; implicit-def: $vgpr50_vgpr51
                                        ; implicit-def: $vgpr5
                                        ; implicit-def: $vgpr12
                                        ; implicit-def: $vgpr14
                                        ; implicit-def: $vgpr15
	s_sub_i32 s33, s4, s28
.LBB0_3:
	v_mov_b32_e32 v2, 0
	v_cmp_gt_u32_e32 vcc, s33, v13
	v_mov_b32_e32 v3, v2
	s_and_saveexec_b64 s[2:3], vcc
	s_cbranch_execz .LBB0_5
; %bb.4:
	global_load_ushort v3, v[10:11], off
	v_mov_b32_e32 v15, v2
	s_waitcnt vmcnt(0)
	v_and_b32_e32 v14, 0xffff, v3
	v_mov_b64_e32 v[2:3], v[14:15]
.LBB0_5:
	s_or_b64 exec, exec, s[2:3]
	v_add_u32_e32 v12, 64, v13
	v_cmp_gt_u32_e64 s[2:3], s33, v12
	s_and_saveexec_b64 s[4:5], s[2:3]
	s_cbranch_execz .LBB0_7
; %bb.6:
	global_load_ushort v5, v[10:11], off offset:128
	s_mov_b32 s6, 0x5040100
	s_waitcnt vmcnt(0)
	v_perm_b32 v2, v5, v2, s6
.LBB0_7:
	s_or_b64 exec, exec, s[4:5]
	v_add_u32_e32 v14, 0x80, v13
	v_cmp_gt_u32_e64 s[4:5], s33, v14
	s_and_saveexec_b64 s[6:7], s[4:5]
	s_cbranch_execz .LBB0_9
; %bb.8:
	global_load_ushort v5, v[10:11], off offset:256
	s_mov_b32 s8, 0xffff
	s_waitcnt vmcnt(0)
	v_bfi_b32 v3, s8, v5, v3
.LBB0_9:
	s_or_b64 exec, exec, s[6:7]
	v_add_u32_e32 v15, 0xc0, v13
	v_cmp_gt_u32_e64 s[6:7], s33, v15
	s_and_saveexec_b64 s[8:9], s[6:7]
	s_cbranch_execz .LBB0_11
; %bb.10:
	global_load_ushort v5, v[10:11], off offset:384
	s_mov_b32 s10, 0x5040100
	s_waitcnt vmcnt(0)
	v_perm_b32 v3, v5, v3, s10
.LBB0_11:
	s_or_b64 exec, exec, s[8:9]
	s_lshl_b64 s[8:9], s[28:29], 3
	s_add_u32 s8, s40, s8
	s_addc_u32 s9, s41, s9
	v_mov_b32_e32 v5, 0
	v_lshl_add_u64 v[10:11], s[8:9], 0, v[4:5]
	v_mov_b32_e32 v7, v5
	v_lshl_add_u64 v[4:5], v[10:11], 0, v[6:7]
                                        ; implicit-def: $vgpr44_vgpr45
	s_and_saveexec_b64 s[8:9], vcc
	s_cbranch_execnz .LBB0_54
; %bb.12:
	s_or_b64 exec, exec, s[8:9]
                                        ; implicit-def: $vgpr46_vgpr47
	s_and_saveexec_b64 s[8:9], s[2:3]
	s_cbranch_execnz .LBB0_55
.LBB0_13:
	s_or_b64 exec, exec, s[8:9]
                                        ; implicit-def: $vgpr48_vgpr49
	s_and_saveexec_b64 s[2:3], s[4:5]
	s_cbranch_execnz .LBB0_56
.LBB0_14:
	s_or_b64 exec, exec, s[2:3]
                                        ; implicit-def: $vgpr50_vgpr51
	s_and_saveexec_b64 s[2:3], s[6:7]
	s_cbranch_execz .LBB0_16
.LBB0_15:
	global_load_dwordx2 v[50:51], v[4:5], off offset:1536
.LBB0_16:
	s_or_b64 exec, exec, s[2:3]
	v_mov_b32_e32 v5, v13
.LBB0_17:
	s_load_dwordx2 s[36:37], s[0:1], 0x28
	v_mov_b32_e32 v6, -1
	s_load_dword s0, s[0:1], 0x3c
	v_xor_b32_sdwa v7, v3, v6 dst_sel:DWORD dst_unused:UNUSED_PAD src0_sel:WORD_1 src1_sel:DWORD
	v_xor_b32_e32 v10, -1, v2
	v_xor_b32_sdwa v6, v2, v6 dst_sel:DWORD dst_unused:UNUSED_PAD src0_sel:WORD_1 src1_sel:DWORD
	v_bfe_u32 v2, v0, 10, 10
	s_waitcnt lgkmcnt(0)
	s_lshr_b32 s1, s0, 16
	v_bfe_u32 v0, v0, 20, 10
	s_and_b32 s0, s0, 0xffff
	v_mad_u32_u24 v0, v0, s1, v2
	v_xor_b32_e32 v4, -1, v3
	v_mad_u64_u32 v[2:3], s[0:1], v0, s0, v[8:9]
	v_lshrrev_b32_e32 v0, 4, v2
	v_and_b32_e32 v20, 0xffffffc, v0
	v_and_b32_e32 v0, 15, v1
	v_cmp_eq_u32_e64 s[0:1], 0, v0
	v_cmp_lt_u32_e64 s[2:3], 1, v0
	v_cmp_lt_u32_e64 s[4:5], 3, v0
	v_cmp_lt_u32_e64 s[6:7], 7, v0
	v_and_b32_e32 v0, 16, v1
	v_cmp_eq_u32_e64 s[8:9], 0, v0
	v_and_b32_e32 v0, 0x3c0, v8
	v_min_u32_e32 v0, 0xc0, v0
	v_or_b32_e32 v0, 63, v0
	v_cmp_eq_u32_e64 s[12:13], v8, v0
	v_subrev_co_u32_e64 v0, s[18:19], 1, v1
	v_and_b32_e32 v2, 64, v1
	v_cmp_lt_i32_e32 vcc, v0, v2
	s_mov_b32 s26, 0
	v_cmp_lt_u32_e64 s[10:11], 31, v1
	v_cndmask_b32_e32 v0, v0, v1, vcc
	v_lshlrev_b32_e32 v21, 2, v0
	v_lshrrev_b32_e32 v0, 4, v8
	v_and_b32_e32 v1, 3, v1
	v_lshlrev_b32_e32 v9, 2, v9
	v_and_b32_e32 v22, 60, v0
	v_mul_i32_i24_e32 v0, -12, v8
	v_cmp_eq_u32_e64 s[22:23], 0, v1
	v_cmp_lt_u32_e64 s[24:25], 1, v1
	v_lshlrev_b32_e32 v24, 1, v5
	v_lshlrev_b32_e32 v25, 1, v12
	;; [unrolled: 1-line block ×4, first 2 shown]
	v_mul_lo_u32 v1, v5, 6
	v_mul_lo_u32 v2, v12, 6
	;; [unrolled: 1-line block ×4, first 2 shown]
	s_mov_b32 s41, 0x5040100
	s_mov_b32 s27, s26
	;; [unrolled: 1-line block ×4, first 2 shown]
	s_add_i32 s40, s37, s36
	v_cmp_gt_u32_e64 s[14:15], 4, v8
	v_cmp_lt_u32_e64 s[16:17], 63, v8
	v_cmp_eq_u32_e64 s[20:21], 0, v8
	v_add_u32_e32 v23, -4, v22
	v_perm_b32 v34, v6, v10, s41
	v_perm_b32 v40, v7, v4, s41
	v_mov_b64_e32 v[12:13], s[26:27]
	v_mov_b64_e32 v[16:17], s[44:45]
	v_mov_b32_e32 v19, 0
	v_add_u32_e32 v28, v9, v0
	v_add_u32_e32 v29, v24, v1
	;; [unrolled: 1-line block ×5, first 2 shown]
	s_branch .LBB0_19
.LBB0_18:                               ;   in Loop: Header=BB0_19 Depth=1
	s_andn2_b64 vcc, exec, s[26:27]
	s_cbranch_vccz .LBB0_35
.LBB0_19:                               ; =>This Inner Loop Header: Depth=1
	s_min_u32 s26, s37, 8
	s_lshl_b32 s44, -1, s26
	v_lshrrev_b32_sdwa v0, s36, v34 dst_sel:DWORD dst_unused:UNUSED_PAD src0_sel:DWORD src1_sel:WORD_0
	v_bitop3_b32 v2, v0, s44, v0 bitop3:0x30
	v_and_b32_e32 v18, 1, v2
	v_lshl_add_u64 v[0:1], v[18:19], 0, -1
	v_cmp_ne_u32_e32 vcc, 0, v18
	v_lshlrev_b32_e32 v3, 4, v2
	v_mov_b32_e32 v33, v40
	v_xor_b32_e32 v1, vcc_hi, v1
	v_xor_b32_e32 v0, vcc_lo, v0
	v_and_b32_e32 v18, exec_hi, v1
	v_and_b32_e32 v35, exec_lo, v0
	v_lshlrev_b32_e32 v1, 30, v2
	v_mov_b32_e32 v0, v19
	v_cmp_gt_i64_e32 vcc, 0, v[0:1]
	v_not_b32_e32 v0, v1
	v_ashrrev_i32_e32 v0, 31, v0
	v_xor_b32_e32 v1, vcc_hi, v0
	v_xor_b32_e32 v0, vcc_lo, v0
	v_and_b32_e32 v18, v18, v1
	v_and_b32_e32 v35, v35, v0
	v_lshlrev_b32_e32 v1, 29, v2
	v_mov_b32_e32 v0, v19
	v_cmp_gt_i64_e32 vcc, 0, v[0:1]
	v_not_b32_e32 v0, v1
	v_ashrrev_i32_e32 v0, 31, v0
	v_xor_b32_e32 v1, vcc_hi, v0
	v_xor_b32_e32 v0, vcc_lo, v0
	v_and_b32_e32 v18, v18, v1
	v_and_b32_e32 v35, v35, v0
	;; [unrolled: 9-line block ×7, first 2 shown]
	v_mbcnt_lo_u32_b32 v2, v0, 0
	v_mbcnt_hi_u32_b32 v36, v1, v2
	v_cmp_eq_u32_e32 vcc, 0, v36
	v_cmp_ne_u64_e64 s[26:27], 0, v[0:1]
	s_waitcnt vmcnt(0)
	v_mov_b64_e32 v[14:15], v[44:45]
	v_mov_b64_e32 v[10:11], v[46:47]
	;; [unrolled: 1-line block ×4, first 2 shown]
	s_and_b64 s[46:47], s[26:27], vcc
	v_add_u32_e32 v37, v20, v3
	ds_write2_b64 v9, v[12:13], v[16:17] offset0:2 offset1:3
	s_waitcnt lgkmcnt(0)
	s_barrier
	; wave barrier
	s_and_saveexec_b64 s[26:27], s[46:47]
; %bb.20:                               ;   in Loop: Header=BB0_19 Depth=1
	v_bcnt_u32_b32 v0, v0, 0
	v_bcnt_u32_b32 v0, v1, v0
	ds_write_b32 v37, v0 offset:16
; %bb.21:                               ;   in Loop: Header=BB0_19 Depth=1
	s_or_b64 exec, exec, s[26:27]
	v_lshrrev_b32_e32 v35, 16, v34
	s_not_b32 s44, s44
	v_lshrrev_b32_e32 v0, s36, v35
	v_and_b32_e32 v2, s44, v0
	v_lshlrev_b32_e32 v0, 4, v2
	v_and_b32_e32 v18, 1, v2
	v_add_u32_e32 v39, v20, v0
	v_lshl_add_u64 v[0:1], v[18:19], 0, -1
	v_cmp_ne_u32_e32 vcc, 0, v18
	; wave barrier
	s_nop 1
	v_xor_b32_e32 v1, vcc_hi, v1
	v_xor_b32_e32 v0, vcc_lo, v0
	v_and_b32_e32 v3, exec_hi, v1
	v_and_b32_e32 v18, exec_lo, v0
	v_lshlrev_b32_e32 v1, 30, v2
	v_mov_b32_e32 v0, v19
	v_cmp_gt_i64_e32 vcc, 0, v[0:1]
	v_not_b32_e32 v0, v1
	v_ashrrev_i32_e32 v0, 31, v0
	v_xor_b32_e32 v1, vcc_hi, v0
	v_xor_b32_e32 v0, vcc_lo, v0
	v_and_b32_e32 v3, v3, v1
	v_and_b32_e32 v18, v18, v0
	v_lshlrev_b32_e32 v1, 29, v2
	v_mov_b32_e32 v0, v19
	v_cmp_gt_i64_e32 vcc, 0, v[0:1]
	v_not_b32_e32 v0, v1
	v_ashrrev_i32_e32 v0, 31, v0
	v_xor_b32_e32 v1, vcc_hi, v0
	v_xor_b32_e32 v0, vcc_lo, v0
	v_and_b32_e32 v3, v3, v1
	v_and_b32_e32 v18, v18, v0
	;; [unrolled: 9-line block ×6, first 2 shown]
	v_lshlrev_b32_e32 v1, 24, v2
	v_mov_b32_e32 v0, v19
	v_cmp_gt_i64_e32 vcc, 0, v[0:1]
	v_not_b32_e32 v0, v1
	v_ashrrev_i32_e32 v0, 31, v0
	v_xor_b32_e32 v1, vcc_hi, v0
	v_xor_b32_e32 v0, vcc_lo, v0
	ds_read_b32 v38, v39 offset:16
	v_and_b32_e32 v0, v18, v0
	v_and_b32_e32 v1, v3, v1
	v_mbcnt_lo_u32_b32 v2, v0, 0
	v_mbcnt_hi_u32_b32 v40, v1, v2
	v_cmp_eq_u32_e32 vcc, 0, v40
	v_cmp_ne_u64_e64 s[26:27], 0, v[0:1]
	s_and_b64 s[46:47], s[26:27], vcc
	; wave barrier
	s_and_saveexec_b64 s[26:27], s[46:47]
	s_cbranch_execz .LBB0_23
; %bb.22:                               ;   in Loop: Header=BB0_19 Depth=1
	v_bcnt_u32_b32 v0, v0, 0
	v_bcnt_u32_b32 v0, v1, v0
	s_waitcnt lgkmcnt(0)
	v_add_u32_e32 v0, v38, v0
	ds_write_b32 v39, v0 offset:16
.LBB0_23:                               ;   in Loop: Header=BB0_19 Depth=1
	s_or_b64 exec, exec, s[26:27]
	v_lshrrev_b32_sdwa v0, s36, v33 dst_sel:DWORD dst_unused:UNUSED_PAD src0_sel:DWORD src1_sel:WORD_0
	v_and_b32_e32 v2, s44, v0
	v_lshlrev_b32_e32 v0, 4, v2
	v_and_b32_e32 v18, 1, v2
	v_add_u32_e32 v42, v20, v0
	v_lshl_add_u64 v[0:1], v[18:19], 0, -1
	v_cmp_ne_u32_e32 vcc, 0, v18
	; wave barrier
	s_nop 1
	v_xor_b32_e32 v1, vcc_hi, v1
	v_xor_b32_e32 v0, vcc_lo, v0
	v_and_b32_e32 v3, exec_hi, v1
	v_and_b32_e32 v18, exec_lo, v0
	v_lshlrev_b32_e32 v1, 30, v2
	v_mov_b32_e32 v0, v19
	v_cmp_gt_i64_e32 vcc, 0, v[0:1]
	v_not_b32_e32 v0, v1
	v_ashrrev_i32_e32 v0, 31, v0
	v_xor_b32_e32 v1, vcc_hi, v0
	v_xor_b32_e32 v0, vcc_lo, v0
	v_and_b32_e32 v3, v3, v1
	v_and_b32_e32 v18, v18, v0
	v_lshlrev_b32_e32 v1, 29, v2
	v_mov_b32_e32 v0, v19
	v_cmp_gt_i64_e32 vcc, 0, v[0:1]
	v_not_b32_e32 v0, v1
	v_ashrrev_i32_e32 v0, 31, v0
	v_xor_b32_e32 v1, vcc_hi, v0
	v_xor_b32_e32 v0, vcc_lo, v0
	v_and_b32_e32 v3, v3, v1
	v_and_b32_e32 v18, v18, v0
	;; [unrolled: 9-line block ×6, first 2 shown]
	v_lshlrev_b32_e32 v1, 24, v2
	v_mov_b32_e32 v0, v19
	v_cmp_gt_i64_e32 vcc, 0, v[0:1]
	v_not_b32_e32 v0, v1
	v_ashrrev_i32_e32 v0, 31, v0
	v_xor_b32_e32 v1, vcc_hi, v0
	v_xor_b32_e32 v0, vcc_lo, v0
	ds_read_b32 v41, v42 offset:16
	v_and_b32_e32 v0, v18, v0
	v_and_b32_e32 v1, v3, v1
	v_mbcnt_lo_u32_b32 v2, v0, 0
	v_mbcnt_hi_u32_b32 v44, v1, v2
	v_cmp_eq_u32_e32 vcc, 0, v44
	v_cmp_ne_u64_e64 s[26:27], 0, v[0:1]
	s_and_b64 s[46:47], s[26:27], vcc
	; wave barrier
	s_and_saveexec_b64 s[26:27], s[46:47]
	s_cbranch_execz .LBB0_25
; %bb.24:                               ;   in Loop: Header=BB0_19 Depth=1
	v_bcnt_u32_b32 v0, v0, 0
	v_bcnt_u32_b32 v0, v1, v0
	s_waitcnt lgkmcnt(0)
	v_add_u32_e32 v0, v41, v0
	ds_write_b32 v42, v0 offset:16
.LBB0_25:                               ;   in Loop: Header=BB0_19 Depth=1
	s_or_b64 exec, exec, s[26:27]
	v_lshrrev_b32_e32 v43, 16, v33
	v_lshrrev_b32_e32 v0, s36, v43
	v_and_b32_e32 v2, s44, v0
	v_lshlrev_b32_e32 v0, 4, v2
	v_and_b32_e32 v18, 1, v2
	v_add_u32_e32 v46, v20, v0
	v_lshl_add_u64 v[0:1], v[18:19], 0, -1
	v_cmp_ne_u32_e32 vcc, 0, v18
	; wave barrier
	s_nop 1
	v_xor_b32_e32 v1, vcc_hi, v1
	v_xor_b32_e32 v0, vcc_lo, v0
	v_and_b32_e32 v3, exec_hi, v1
	v_and_b32_e32 v18, exec_lo, v0
	v_lshlrev_b32_e32 v1, 30, v2
	v_mov_b32_e32 v0, v19
	v_cmp_gt_i64_e32 vcc, 0, v[0:1]
	v_not_b32_e32 v0, v1
	v_ashrrev_i32_e32 v0, 31, v0
	v_xor_b32_e32 v1, vcc_hi, v0
	v_xor_b32_e32 v0, vcc_lo, v0
	v_and_b32_e32 v3, v3, v1
	v_and_b32_e32 v18, v18, v0
	v_lshlrev_b32_e32 v1, 29, v2
	v_mov_b32_e32 v0, v19
	v_cmp_gt_i64_e32 vcc, 0, v[0:1]
	v_not_b32_e32 v0, v1
	v_ashrrev_i32_e32 v0, 31, v0
	v_xor_b32_e32 v1, vcc_hi, v0
	v_xor_b32_e32 v0, vcc_lo, v0
	v_and_b32_e32 v3, v3, v1
	v_and_b32_e32 v18, v18, v0
	;; [unrolled: 9-line block ×6, first 2 shown]
	v_lshlrev_b32_e32 v1, 24, v2
	v_mov_b32_e32 v0, v19
	v_cmp_gt_i64_e32 vcc, 0, v[0:1]
	v_not_b32_e32 v0, v1
	v_ashrrev_i32_e32 v0, 31, v0
	v_xor_b32_e32 v1, vcc_hi, v0
	v_xor_b32_e32 v0, vcc_lo, v0
	ds_read_b32 v45, v46 offset:16
	v_and_b32_e32 v0, v18, v0
	v_and_b32_e32 v1, v3, v1
	v_mbcnt_lo_u32_b32 v2, v0, 0
	v_mbcnt_hi_u32_b32 v18, v1, v2
	v_cmp_eq_u32_e32 vcc, 0, v18
	v_cmp_ne_u64_e64 s[26:27], 0, v[0:1]
	s_and_b64 s[44:45], s[26:27], vcc
	; wave barrier
	s_and_saveexec_b64 s[26:27], s[44:45]
	s_cbranch_execz .LBB0_27
; %bb.26:                               ;   in Loop: Header=BB0_19 Depth=1
	v_bcnt_u32_b32 v0, v0, 0
	v_bcnt_u32_b32 v0, v1, v0
	s_waitcnt lgkmcnt(0)
	v_add_u32_e32 v0, v45, v0
	ds_write_b32 v46, v0 offset:16
.LBB0_27:                               ;   in Loop: Header=BB0_19 Depth=1
	s_or_b64 exec, exec, s[26:27]
	; wave barrier
	s_waitcnt lgkmcnt(0)
	s_barrier
	ds_read2_b64 v[0:3], v9 offset0:2 offset1:3
	s_waitcnt lgkmcnt(0)
	v_add_u32_e32 v47, v1, v0
	v_add3_u32 v3, v47, v2, v3
	s_nop 1
	v_mov_b32_dpp v47, v3 row_shr:1 row_mask:0xf bank_mask:0xf
	v_cndmask_b32_e64 v47, v47, 0, s[0:1]
	v_add_u32_e32 v3, v47, v3
	s_nop 1
	v_mov_b32_dpp v47, v3 row_shr:2 row_mask:0xf bank_mask:0xf
	v_cndmask_b32_e64 v47, 0, v47, s[2:3]
	v_add_u32_e32 v3, v3, v47
	;; [unrolled: 4-line block ×4, first 2 shown]
	s_nop 1
	v_mov_b32_dpp v47, v3 row_bcast:15 row_mask:0xf bank_mask:0xf
	v_cndmask_b32_e64 v47, v47, 0, s[8:9]
	v_add_u32_e32 v3, v3, v47
	s_nop 1
	v_mov_b32_dpp v47, v3 row_bcast:31 row_mask:0xf bank_mask:0xf
	v_cndmask_b32_e64 v47, 0, v47, s[10:11]
	v_add_u32_e32 v3, v3, v47
	s_and_saveexec_b64 s[26:27], s[12:13]
; %bb.28:                               ;   in Loop: Header=BB0_19 Depth=1
	ds_write_b32 v22, v3
; %bb.29:                               ;   in Loop: Header=BB0_19 Depth=1
	s_or_b64 exec, exec, s[26:27]
	s_waitcnt lgkmcnt(0)
	s_barrier
	s_and_saveexec_b64 s[26:27], s[14:15]
	s_cbranch_execz .LBB0_31
; %bb.30:                               ;   in Loop: Header=BB0_19 Depth=1
	ds_read_b32 v47, v28
	s_waitcnt lgkmcnt(0)
	s_nop 0
	v_mov_b32_dpp v48, v47 row_shr:1 row_mask:0xf bank_mask:0xf
	v_cndmask_b32_e64 v48, v48, 0, s[22:23]
	v_add_u32_e32 v47, v48, v47
	s_nop 1
	v_mov_b32_dpp v48, v47 row_shr:2 row_mask:0xf bank_mask:0xf
	v_cndmask_b32_e64 v48, 0, v48, s[24:25]
	v_add_u32_e32 v47, v47, v48
	ds_write_b32 v28, v47
.LBB0_31:                               ;   in Loop: Header=BB0_19 Depth=1
	s_or_b64 exec, exec, s[26:27]
	v_mov_b32_e32 v47, 0
	s_waitcnt lgkmcnt(0)
	s_barrier
	s_and_saveexec_b64 s[26:27], s[16:17]
; %bb.32:                               ;   in Loop: Header=BB0_19 Depth=1
	ds_read_b32 v47, v23
; %bb.33:                               ;   in Loop: Header=BB0_19 Depth=1
	s_or_b64 exec, exec, s[26:27]
	s_waitcnt lgkmcnt(0)
	v_add_u32_e32 v3, v47, v3
	ds_bpermute_b32 v3, v21, v3
	s_add_i32 s36, s36, 8
	s_cmp_ge_u32 s36, s40
	s_mov_b64 s[26:27], -1
                                        ; implicit-def: $vgpr50_vgpr51
	s_waitcnt lgkmcnt(0)
	v_cndmask_b32_e64 v3, v3, v47, s[18:19]
	v_cndmask_b32_e64 v48, v3, 0, s[20:21]
	v_add_u32_e32 v49, v48, v0
	v_add_u32_e32 v0, v49, v1
	;; [unrolled: 1-line block ×3, first 2 shown]
	ds_write2_b64 v9, v[48:49], v[0:1] offset0:2 offset1:3
	s_waitcnt lgkmcnt(0)
	s_barrier
	ds_read_b32 v0, v37 offset:16
	ds_read_b32 v1, v39 offset:16
	;; [unrolled: 1-line block ×4, first 2 shown]
	v_mov_b32_e32 v39, v34
	s_waitcnt lgkmcnt(3)
	v_add_u32_e32 v42, v0, v36
	s_waitcnt lgkmcnt(2)
	v_add3_u32 v36, v40, v38, v1
	s_waitcnt lgkmcnt(1)
	v_add3_u32 v3, v44, v41, v2
	;; [unrolled: 2-line block ×3, first 2 shown]
	v_lshlrev_b32_e32 v37, 1, v42
	v_lshlrev_b32_e32 v18, 1, v36
	;; [unrolled: 1-line block ×4, first 2 shown]
	v_mul_lo_u32 v38, v42, 6
                                        ; implicit-def: $vgpr40
                                        ; implicit-def: $vgpr44_vgpr45
                                        ; implicit-def: $vgpr46_vgpr47
                                        ; implicit-def: $vgpr48_vgpr49
	s_cbranch_scc1 .LBB0_18
; %bb.34:                               ;   in Loop: Header=BB0_19 Depth=1
	v_add_u32_e32 v40, v37, v38
	s_barrier
	ds_write_b16 v37, v34
	ds_write_b16 v18, v35
	;; [unrolled: 1-line block ×4, first 2 shown]
	s_waitcnt lgkmcnt(0)
	s_barrier
	ds_read_u16 v34, v24
	ds_read_u16 v42, v25
	;; [unrolled: 1-line block ×4, first 2 shown]
	s_waitcnt lgkmcnt(0)
	s_barrier
	ds_write_b64 v40, v[14:15]
	v_mad_u64_u32 v[40:41], s[26:27], v36, 6, v[18:19]
	ds_write_b64 v40, v[10:11]
	v_mad_u64_u32 v[40:41], s[26:27], v3, 6, v[2:3]
	;; [unrolled: 2-line block ×3, first 2 shown]
	ds_write_b64 v40, v[4:5]
	s_waitcnt lgkmcnt(0)
	s_barrier
	ds_read_b64 v[44:45], v29
	ds_read_b64 v[46:47], v30
	;; [unrolled: 1-line block ×4, first 2 shown]
	v_perm_b32 v34, v42, v34, s41
	v_perm_b32 v40, v53, v52, s41
	s_add_i32 s37, s37, -8
	s_mov_b64 s[26:27], 0
	s_waitcnt lgkmcnt(0)
	s_barrier
	s_branch .LBB0_18
.LBB0_35:
	v_lshlrev_b32_e32 v12, 1, v8
	s_barrier
	ds_write_b16 v37, v39
	ds_write_b16 v18, v35
	;; [unrolled: 1-line block ×4, first 2 shown]
	s_waitcnt lgkmcnt(0)
	s_barrier
	ds_read_u16 v9, v12
	ds_read_u16 v13, v12 offset:512
	ds_read_u16 v17, v12 offset:1024
	;; [unrolled: 1-line block ×3, first 2 shown]
	v_add_u32_e32 v16, v37, v38
	s_waitcnt lgkmcnt(0)
	s_barrier
	ds_write_b64 v16, v[14:15]
	v_mad_u64_u32 v[14:15], s[0:1], v36, 6, v[18:19]
	v_mad_u64_u32 v[2:3], s[0:1], v3, 6, v[2:3]
	;; [unrolled: 1-line block ×3, first 2 shown]
	ds_write_b64 v14, v[10:11]
	ds_write_b64 v2, v[6:7]
	;; [unrolled: 1-line block ×3, first 2 shown]
	v_mad_u32_u24 v0, v8, 6, v12
	s_waitcnt lgkmcnt(0)
	s_barrier
	ds_read2st64_b64 v[4:7], v0 offset1:4
	ds_read2st64_b64 v[0:3], v0 offset0:8 offset1:12
	s_add_u32 s0, s38, s34
	v_xor_b32_e32 v15, -1, v13
	s_addc_u32 s1, s39, s35
	v_mov_b32_e32 v13, 0
	v_xor_b32_e32 v16, -1, v9
	v_xor_b32_e32 v14, -1, v17
	;; [unrolled: 1-line block ×3, first 2 shown]
	v_lshl_add_u64 v[10:11], s[0:1], 0, v[12:13]
	s_andn2_b64 vcc, exec, s[30:31]
	v_lshlrev_b32_e32 v12, 3, v8
	s_cbranch_vccnz .LBB0_37
; %bb.36:
	s_lshl_b64 s[0:1], s[28:29], 3
	s_add_u32 s0, s42, s0
	s_addc_u32 s1, s43, s1
	v_lshl_add_u64 v[18:19], s[0:1], 0, v[12:13]
	v_add_co_u32_e32 v18, vcc, 0x1000, v18
	global_store_short v[10:11], v16, off
	global_store_short v[10:11], v15, off offset:512
	global_store_short v[10:11], v14, off offset:1024
	;; [unrolled: 1-line block ×3, first 2 shown]
	s_waitcnt lgkmcnt(1)
	global_store_dwordx2 v12, v[4:5], s[0:1]
	global_store_dwordx2 v12, v[6:7], s[0:1] offset:2048
	v_addc_co_u32_e32 v19, vcc, 0, v19, vcc
	s_mov_b64 s[4:5], -1
	s_waitcnt lgkmcnt(0)
	global_store_dwordx2 v[18:19], v[0:1], off
	s_cbranch_execz .LBB0_38
	s_branch .LBB0_51
.LBB0_37:
	s_mov_b64 s[4:5], 0
.LBB0_38:
	v_cmp_gt_u32_e32 vcc, s33, v8
	s_and_saveexec_b64 s[0:1], vcc
	s_cbranch_execz .LBB0_40
; %bb.39:
	global_store_short v[10:11], v16, off
.LBB0_40:
	s_or_b64 exec, exec, s[0:1]
	v_add_u32_e32 v13, 0x100, v8
	v_cmp_gt_u32_e64 s[0:1], s33, v13
	s_and_saveexec_b64 s[2:3], s[0:1]
	s_cbranch_execz .LBB0_42
; %bb.41:
	global_store_short v[10:11], v15, off offset:512
.LBB0_42:
	s_or_b64 exec, exec, s[2:3]
	v_add_u32_e32 v13, 0x200, v8
	v_cmp_gt_u32_e64 s[2:3], s33, v13
	s_and_saveexec_b64 s[4:5], s[2:3]
	s_cbranch_execz .LBB0_44
; %bb.43:
	global_store_short v[10:11], v14, off offset:1024
.LBB0_44:
	;; [unrolled: 8-line block ×3, first 2 shown]
	s_or_b64 exec, exec, s[6:7]
	s_lshl_b64 s[6:7], s[28:29], 3
	s_add_u32 s6, s42, s6
	s_addc_u32 s7, s43, s7
	v_mov_b32_e32 v13, 0
	v_lshl_add_u64 v[8:9], s[6:7], 0, v[12:13]
	s_and_saveexec_b64 s[6:7], vcc
	s_cbranch_execnz .LBB0_57
; %bb.47:
	s_or_b64 exec, exec, s[6:7]
	s_and_saveexec_b64 s[6:7], s[0:1]
	s_cbranch_execnz .LBB0_58
.LBB0_48:
	s_or_b64 exec, exec, s[6:7]
	s_and_saveexec_b64 s[0:1], s[2:3]
	s_cbranch_execz .LBB0_50
.LBB0_49:
	s_waitcnt lgkmcnt(1)
	v_add_co_u32_e32 v4, vcc, 0x1000, v8
	s_nop 1
	v_addc_co_u32_e32 v5, vcc, 0, v9, vcc
	s_waitcnt lgkmcnt(0)
	global_store_dwordx2 v[4:5], v[0:1], off
.LBB0_50:
	s_or_b64 exec, exec, s[0:1]
.LBB0_51:
	s_and_saveexec_b64 s[0:1], s[4:5]
	s_cbranch_execnz .LBB0_53
; %bb.52:
	s_endpgm
.LBB0_53:
	s_lshl_b64 s[0:1], s[28:29], 3
	s_add_u32 s0, s42, s0
	s_addc_u32 s1, s43, s1
	v_mov_b32_e32 v13, 0
	s_waitcnt lgkmcnt(0)
	v_lshl_add_u64 v[0:1], s[0:1], 0, v[12:13]
	v_add_co_u32_e32 v0, vcc, 0x1000, v0
	s_nop 1
	v_addc_co_u32_e32 v1, vcc, 0, v1, vcc
	global_store_dwordx2 v[0:1], v[2:3], off offset:2048
	s_endpgm
.LBB0_54:
	global_load_dwordx2 v[44:45], v[4:5], off
	s_or_b64 exec, exec, s[8:9]
                                        ; implicit-def: $vgpr46_vgpr47
	s_and_saveexec_b64 s[8:9], s[2:3]
	s_cbranch_execz .LBB0_13
.LBB0_55:
	global_load_dwordx2 v[46:47], v[4:5], off offset:512
	s_or_b64 exec, exec, s[8:9]
                                        ; implicit-def: $vgpr48_vgpr49
	s_and_saveexec_b64 s[2:3], s[4:5]
	s_cbranch_execz .LBB0_14
.LBB0_56:
	global_load_dwordx2 v[48:49], v[4:5], off offset:1024
	s_or_b64 exec, exec, s[2:3]
                                        ; implicit-def: $vgpr50_vgpr51
	s_and_saveexec_b64 s[2:3], s[6:7]
	s_cbranch_execnz .LBB0_15
	s_branch .LBB0_16
.LBB0_57:
	s_waitcnt lgkmcnt(1)
	global_store_dwordx2 v[8:9], v[4:5], off
	s_or_b64 exec, exec, s[6:7]
	s_and_saveexec_b64 s[6:7], s[0:1]
	s_cbranch_execz .LBB0_48
.LBB0_58:
	s_waitcnt lgkmcnt(1)
	global_store_dwordx2 v[8:9], v[6:7], off offset:2048
	s_or_b64 exec, exec, s[6:7]
	s_and_saveexec_b64 s[0:1], s[2:3]
	s_cbranch_execnz .LBB0_49
	s_branch .LBB0_50
	.section	.rodata,"a",@progbits
	.p2align	6, 0x0
	.amdhsa_kernel _ZN7rocprim17ROCPRIM_304000_NS6detail28radix_sort_block_sort_kernelINS1_36wrapped_radix_sort_block_sort_configINS0_13kernel_configILj256ELj4ELj4294967295EEEtN2at4cuda3cub6detail10OpaqueTypeILi8EEEEELb1EPKtPtPKSB_PSB_NS0_19identity_decomposerEEEvT1_T2_T3_T4_jT5_jj
		.amdhsa_group_segment_fixed_size 8192
		.amdhsa_private_segment_fixed_size 0
		.amdhsa_kernarg_size 304
		.amdhsa_user_sgpr_count 2
		.amdhsa_user_sgpr_dispatch_ptr 0
		.amdhsa_user_sgpr_queue_ptr 0
		.amdhsa_user_sgpr_kernarg_segment_ptr 1
		.amdhsa_user_sgpr_dispatch_id 0
		.amdhsa_user_sgpr_kernarg_preload_length 0
		.amdhsa_user_sgpr_kernarg_preload_offset 0
		.amdhsa_user_sgpr_private_segment_size 0
		.amdhsa_uses_dynamic_stack 0
		.amdhsa_enable_private_segment 0
		.amdhsa_system_sgpr_workgroup_id_x 1
		.amdhsa_system_sgpr_workgroup_id_y 0
		.amdhsa_system_sgpr_workgroup_id_z 0
		.amdhsa_system_sgpr_workgroup_info 0
		.amdhsa_system_vgpr_workitem_id 2
		.amdhsa_next_free_vgpr 54
		.amdhsa_next_free_sgpr 48
		.amdhsa_accum_offset 56
		.amdhsa_reserve_vcc 1
		.amdhsa_float_round_mode_32 0
		.amdhsa_float_round_mode_16_64 0
		.amdhsa_float_denorm_mode_32 3
		.amdhsa_float_denorm_mode_16_64 3
		.amdhsa_dx10_clamp 1
		.amdhsa_ieee_mode 1
		.amdhsa_fp16_overflow 0
		.amdhsa_tg_split 0
		.amdhsa_exception_fp_ieee_invalid_op 0
		.amdhsa_exception_fp_denorm_src 0
		.amdhsa_exception_fp_ieee_div_zero 0
		.amdhsa_exception_fp_ieee_overflow 0
		.amdhsa_exception_fp_ieee_underflow 0
		.amdhsa_exception_fp_ieee_inexact 0
		.amdhsa_exception_int_div_zero 0
	.end_amdhsa_kernel
	.section	.text._ZN7rocprim17ROCPRIM_304000_NS6detail28radix_sort_block_sort_kernelINS1_36wrapped_radix_sort_block_sort_configINS0_13kernel_configILj256ELj4ELj4294967295EEEtN2at4cuda3cub6detail10OpaqueTypeILi8EEEEELb1EPKtPtPKSB_PSB_NS0_19identity_decomposerEEEvT1_T2_T3_T4_jT5_jj,"axG",@progbits,_ZN7rocprim17ROCPRIM_304000_NS6detail28radix_sort_block_sort_kernelINS1_36wrapped_radix_sort_block_sort_configINS0_13kernel_configILj256ELj4ELj4294967295EEEtN2at4cuda3cub6detail10OpaqueTypeILi8EEEEELb1EPKtPtPKSB_PSB_NS0_19identity_decomposerEEEvT1_T2_T3_T4_jT5_jj,comdat
.Lfunc_end0:
	.size	_ZN7rocprim17ROCPRIM_304000_NS6detail28radix_sort_block_sort_kernelINS1_36wrapped_radix_sort_block_sort_configINS0_13kernel_configILj256ELj4ELj4294967295EEEtN2at4cuda3cub6detail10OpaqueTypeILi8EEEEELb1EPKtPtPKSB_PSB_NS0_19identity_decomposerEEEvT1_T2_T3_T4_jT5_jj, .Lfunc_end0-_ZN7rocprim17ROCPRIM_304000_NS6detail28radix_sort_block_sort_kernelINS1_36wrapped_radix_sort_block_sort_configINS0_13kernel_configILj256ELj4ELj4294967295EEEtN2at4cuda3cub6detail10OpaqueTypeILi8EEEEELb1EPKtPtPKSB_PSB_NS0_19identity_decomposerEEEvT1_T2_T3_T4_jT5_jj
                                        ; -- End function
	.set _ZN7rocprim17ROCPRIM_304000_NS6detail28radix_sort_block_sort_kernelINS1_36wrapped_radix_sort_block_sort_configINS0_13kernel_configILj256ELj4ELj4294967295EEEtN2at4cuda3cub6detail10OpaqueTypeILi8EEEEELb1EPKtPtPKSB_PSB_NS0_19identity_decomposerEEEvT1_T2_T3_T4_jT5_jj.num_vgpr, 54
	.set _ZN7rocprim17ROCPRIM_304000_NS6detail28radix_sort_block_sort_kernelINS1_36wrapped_radix_sort_block_sort_configINS0_13kernel_configILj256ELj4ELj4294967295EEEtN2at4cuda3cub6detail10OpaqueTypeILi8EEEEELb1EPKtPtPKSB_PSB_NS0_19identity_decomposerEEEvT1_T2_T3_T4_jT5_jj.num_agpr, 0
	.set _ZN7rocprim17ROCPRIM_304000_NS6detail28radix_sort_block_sort_kernelINS1_36wrapped_radix_sort_block_sort_configINS0_13kernel_configILj256ELj4ELj4294967295EEEtN2at4cuda3cub6detail10OpaqueTypeILi8EEEEELb1EPKtPtPKSB_PSB_NS0_19identity_decomposerEEEvT1_T2_T3_T4_jT5_jj.numbered_sgpr, 48
	.set _ZN7rocprim17ROCPRIM_304000_NS6detail28radix_sort_block_sort_kernelINS1_36wrapped_radix_sort_block_sort_configINS0_13kernel_configILj256ELj4ELj4294967295EEEtN2at4cuda3cub6detail10OpaqueTypeILi8EEEEELb1EPKtPtPKSB_PSB_NS0_19identity_decomposerEEEvT1_T2_T3_T4_jT5_jj.num_named_barrier, 0
	.set _ZN7rocprim17ROCPRIM_304000_NS6detail28radix_sort_block_sort_kernelINS1_36wrapped_radix_sort_block_sort_configINS0_13kernel_configILj256ELj4ELj4294967295EEEtN2at4cuda3cub6detail10OpaqueTypeILi8EEEEELb1EPKtPtPKSB_PSB_NS0_19identity_decomposerEEEvT1_T2_T3_T4_jT5_jj.private_seg_size, 0
	.set _ZN7rocprim17ROCPRIM_304000_NS6detail28radix_sort_block_sort_kernelINS1_36wrapped_radix_sort_block_sort_configINS0_13kernel_configILj256ELj4ELj4294967295EEEtN2at4cuda3cub6detail10OpaqueTypeILi8EEEEELb1EPKtPtPKSB_PSB_NS0_19identity_decomposerEEEvT1_T2_T3_T4_jT5_jj.uses_vcc, 1
	.set _ZN7rocprim17ROCPRIM_304000_NS6detail28radix_sort_block_sort_kernelINS1_36wrapped_radix_sort_block_sort_configINS0_13kernel_configILj256ELj4ELj4294967295EEEtN2at4cuda3cub6detail10OpaqueTypeILi8EEEEELb1EPKtPtPKSB_PSB_NS0_19identity_decomposerEEEvT1_T2_T3_T4_jT5_jj.uses_flat_scratch, 0
	.set _ZN7rocprim17ROCPRIM_304000_NS6detail28radix_sort_block_sort_kernelINS1_36wrapped_radix_sort_block_sort_configINS0_13kernel_configILj256ELj4ELj4294967295EEEtN2at4cuda3cub6detail10OpaqueTypeILi8EEEEELb1EPKtPtPKSB_PSB_NS0_19identity_decomposerEEEvT1_T2_T3_T4_jT5_jj.has_dyn_sized_stack, 0
	.set _ZN7rocprim17ROCPRIM_304000_NS6detail28radix_sort_block_sort_kernelINS1_36wrapped_radix_sort_block_sort_configINS0_13kernel_configILj256ELj4ELj4294967295EEEtN2at4cuda3cub6detail10OpaqueTypeILi8EEEEELb1EPKtPtPKSB_PSB_NS0_19identity_decomposerEEEvT1_T2_T3_T4_jT5_jj.has_recursion, 0
	.set _ZN7rocprim17ROCPRIM_304000_NS6detail28radix_sort_block_sort_kernelINS1_36wrapped_radix_sort_block_sort_configINS0_13kernel_configILj256ELj4ELj4294967295EEEtN2at4cuda3cub6detail10OpaqueTypeILi8EEEEELb1EPKtPtPKSB_PSB_NS0_19identity_decomposerEEEvT1_T2_T3_T4_jT5_jj.has_indirect_call, 0
	.section	.AMDGPU.csdata,"",@progbits
; Kernel info:
; codeLenInByte = 4088
; TotalNumSgprs: 54
; NumVgprs: 54
; NumAgprs: 0
; TotalNumVgprs: 54
; ScratchSize: 0
; MemoryBound: 0
; FloatMode: 240
; IeeeMode: 1
; LDSByteSize: 8192 bytes/workgroup (compile time only)
; SGPRBlocks: 6
; VGPRBlocks: 6
; NumSGPRsForWavesPerEU: 54
; NumVGPRsForWavesPerEU: 54
; AccumOffset: 56
; Occupancy: 8
; WaveLimiterHint : 1
; COMPUTE_PGM_RSRC2:SCRATCH_EN: 0
; COMPUTE_PGM_RSRC2:USER_SGPR: 2
; COMPUTE_PGM_RSRC2:TRAP_HANDLER: 0
; COMPUTE_PGM_RSRC2:TGID_X_EN: 1
; COMPUTE_PGM_RSRC2:TGID_Y_EN: 0
; COMPUTE_PGM_RSRC2:TGID_Z_EN: 0
; COMPUTE_PGM_RSRC2:TIDIG_COMP_CNT: 2
; COMPUTE_PGM_RSRC3_GFX90A:ACCUM_OFFSET: 13
; COMPUTE_PGM_RSRC3_GFX90A:TG_SPLIT: 0
	.section	.text._ZN7rocprim17ROCPRIM_304000_NS6detail39device_merge_sort_compile_time_verifierINS1_36wrapped_merge_sort_block_sort_configINS1_28merge_sort_block_sort_configILj256ELj4ELNS0_20block_sort_algorithmE0EEEtN2at4cuda3cub6detail10OpaqueTypeILi8EEEEENS1_37wrapped_merge_sort_block_merge_configINS0_14default_configEtSC_EEEEvv,"axG",@progbits,_ZN7rocprim17ROCPRIM_304000_NS6detail39device_merge_sort_compile_time_verifierINS1_36wrapped_merge_sort_block_sort_configINS1_28merge_sort_block_sort_configILj256ELj4ELNS0_20block_sort_algorithmE0EEEtN2at4cuda3cub6detail10OpaqueTypeILi8EEEEENS1_37wrapped_merge_sort_block_merge_configINS0_14default_configEtSC_EEEEvv,comdat
	.protected	_ZN7rocprim17ROCPRIM_304000_NS6detail39device_merge_sort_compile_time_verifierINS1_36wrapped_merge_sort_block_sort_configINS1_28merge_sort_block_sort_configILj256ELj4ELNS0_20block_sort_algorithmE0EEEtN2at4cuda3cub6detail10OpaqueTypeILi8EEEEENS1_37wrapped_merge_sort_block_merge_configINS0_14default_configEtSC_EEEEvv ; -- Begin function _ZN7rocprim17ROCPRIM_304000_NS6detail39device_merge_sort_compile_time_verifierINS1_36wrapped_merge_sort_block_sort_configINS1_28merge_sort_block_sort_configILj256ELj4ELNS0_20block_sort_algorithmE0EEEtN2at4cuda3cub6detail10OpaqueTypeILi8EEEEENS1_37wrapped_merge_sort_block_merge_configINS0_14default_configEtSC_EEEEvv
	.globl	_ZN7rocprim17ROCPRIM_304000_NS6detail39device_merge_sort_compile_time_verifierINS1_36wrapped_merge_sort_block_sort_configINS1_28merge_sort_block_sort_configILj256ELj4ELNS0_20block_sort_algorithmE0EEEtN2at4cuda3cub6detail10OpaqueTypeILi8EEEEENS1_37wrapped_merge_sort_block_merge_configINS0_14default_configEtSC_EEEEvv
	.p2align	8
	.type	_ZN7rocprim17ROCPRIM_304000_NS6detail39device_merge_sort_compile_time_verifierINS1_36wrapped_merge_sort_block_sort_configINS1_28merge_sort_block_sort_configILj256ELj4ELNS0_20block_sort_algorithmE0EEEtN2at4cuda3cub6detail10OpaqueTypeILi8EEEEENS1_37wrapped_merge_sort_block_merge_configINS0_14default_configEtSC_EEEEvv,@function
_ZN7rocprim17ROCPRIM_304000_NS6detail39device_merge_sort_compile_time_verifierINS1_36wrapped_merge_sort_block_sort_configINS1_28merge_sort_block_sort_configILj256ELj4ELNS0_20block_sort_algorithmE0EEEtN2at4cuda3cub6detail10OpaqueTypeILi8EEEEENS1_37wrapped_merge_sort_block_merge_configINS0_14default_configEtSC_EEEEvv: ; @_ZN7rocprim17ROCPRIM_304000_NS6detail39device_merge_sort_compile_time_verifierINS1_36wrapped_merge_sort_block_sort_configINS1_28merge_sort_block_sort_configILj256ELj4ELNS0_20block_sort_algorithmE0EEEtN2at4cuda3cub6detail10OpaqueTypeILi8EEEEENS1_37wrapped_merge_sort_block_merge_configINS0_14default_configEtSC_EEEEvv
; %bb.0:
	s_endpgm
	.section	.rodata,"a",@progbits
	.p2align	6, 0x0
	.amdhsa_kernel _ZN7rocprim17ROCPRIM_304000_NS6detail39device_merge_sort_compile_time_verifierINS1_36wrapped_merge_sort_block_sort_configINS1_28merge_sort_block_sort_configILj256ELj4ELNS0_20block_sort_algorithmE0EEEtN2at4cuda3cub6detail10OpaqueTypeILi8EEEEENS1_37wrapped_merge_sort_block_merge_configINS0_14default_configEtSC_EEEEvv
		.amdhsa_group_segment_fixed_size 0
		.amdhsa_private_segment_fixed_size 0
		.amdhsa_kernarg_size 0
		.amdhsa_user_sgpr_count 0
		.amdhsa_user_sgpr_dispatch_ptr 0
		.amdhsa_user_sgpr_queue_ptr 0
		.amdhsa_user_sgpr_kernarg_segment_ptr 0
		.amdhsa_user_sgpr_dispatch_id 0
		.amdhsa_user_sgpr_kernarg_preload_length 0
		.amdhsa_user_sgpr_kernarg_preload_offset 0
		.amdhsa_user_sgpr_private_segment_size 0
		.amdhsa_uses_dynamic_stack 0
		.amdhsa_enable_private_segment 0
		.amdhsa_system_sgpr_workgroup_id_x 1
		.amdhsa_system_sgpr_workgroup_id_y 0
		.amdhsa_system_sgpr_workgroup_id_z 0
		.amdhsa_system_sgpr_workgroup_info 0
		.amdhsa_system_vgpr_workitem_id 0
		.amdhsa_next_free_vgpr 1
		.amdhsa_next_free_sgpr 0
		.amdhsa_accum_offset 4
		.amdhsa_reserve_vcc 0
		.amdhsa_float_round_mode_32 0
		.amdhsa_float_round_mode_16_64 0
		.amdhsa_float_denorm_mode_32 3
		.amdhsa_float_denorm_mode_16_64 3
		.amdhsa_dx10_clamp 1
		.amdhsa_ieee_mode 1
		.amdhsa_fp16_overflow 0
		.amdhsa_tg_split 0
		.amdhsa_exception_fp_ieee_invalid_op 0
		.amdhsa_exception_fp_denorm_src 0
		.amdhsa_exception_fp_ieee_div_zero 0
		.amdhsa_exception_fp_ieee_overflow 0
		.amdhsa_exception_fp_ieee_underflow 0
		.amdhsa_exception_fp_ieee_inexact 0
		.amdhsa_exception_int_div_zero 0
	.end_amdhsa_kernel
	.section	.text._ZN7rocprim17ROCPRIM_304000_NS6detail39device_merge_sort_compile_time_verifierINS1_36wrapped_merge_sort_block_sort_configINS1_28merge_sort_block_sort_configILj256ELj4ELNS0_20block_sort_algorithmE0EEEtN2at4cuda3cub6detail10OpaqueTypeILi8EEEEENS1_37wrapped_merge_sort_block_merge_configINS0_14default_configEtSC_EEEEvv,"axG",@progbits,_ZN7rocprim17ROCPRIM_304000_NS6detail39device_merge_sort_compile_time_verifierINS1_36wrapped_merge_sort_block_sort_configINS1_28merge_sort_block_sort_configILj256ELj4ELNS0_20block_sort_algorithmE0EEEtN2at4cuda3cub6detail10OpaqueTypeILi8EEEEENS1_37wrapped_merge_sort_block_merge_configINS0_14default_configEtSC_EEEEvv,comdat
.Lfunc_end1:
	.size	_ZN7rocprim17ROCPRIM_304000_NS6detail39device_merge_sort_compile_time_verifierINS1_36wrapped_merge_sort_block_sort_configINS1_28merge_sort_block_sort_configILj256ELj4ELNS0_20block_sort_algorithmE0EEEtN2at4cuda3cub6detail10OpaqueTypeILi8EEEEENS1_37wrapped_merge_sort_block_merge_configINS0_14default_configEtSC_EEEEvv, .Lfunc_end1-_ZN7rocprim17ROCPRIM_304000_NS6detail39device_merge_sort_compile_time_verifierINS1_36wrapped_merge_sort_block_sort_configINS1_28merge_sort_block_sort_configILj256ELj4ELNS0_20block_sort_algorithmE0EEEtN2at4cuda3cub6detail10OpaqueTypeILi8EEEEENS1_37wrapped_merge_sort_block_merge_configINS0_14default_configEtSC_EEEEvv
                                        ; -- End function
	.set _ZN7rocprim17ROCPRIM_304000_NS6detail39device_merge_sort_compile_time_verifierINS1_36wrapped_merge_sort_block_sort_configINS1_28merge_sort_block_sort_configILj256ELj4ELNS0_20block_sort_algorithmE0EEEtN2at4cuda3cub6detail10OpaqueTypeILi8EEEEENS1_37wrapped_merge_sort_block_merge_configINS0_14default_configEtSC_EEEEvv.num_vgpr, 0
	.set _ZN7rocprim17ROCPRIM_304000_NS6detail39device_merge_sort_compile_time_verifierINS1_36wrapped_merge_sort_block_sort_configINS1_28merge_sort_block_sort_configILj256ELj4ELNS0_20block_sort_algorithmE0EEEtN2at4cuda3cub6detail10OpaqueTypeILi8EEEEENS1_37wrapped_merge_sort_block_merge_configINS0_14default_configEtSC_EEEEvv.num_agpr, 0
	.set _ZN7rocprim17ROCPRIM_304000_NS6detail39device_merge_sort_compile_time_verifierINS1_36wrapped_merge_sort_block_sort_configINS1_28merge_sort_block_sort_configILj256ELj4ELNS0_20block_sort_algorithmE0EEEtN2at4cuda3cub6detail10OpaqueTypeILi8EEEEENS1_37wrapped_merge_sort_block_merge_configINS0_14default_configEtSC_EEEEvv.numbered_sgpr, 0
	.set _ZN7rocprim17ROCPRIM_304000_NS6detail39device_merge_sort_compile_time_verifierINS1_36wrapped_merge_sort_block_sort_configINS1_28merge_sort_block_sort_configILj256ELj4ELNS0_20block_sort_algorithmE0EEEtN2at4cuda3cub6detail10OpaqueTypeILi8EEEEENS1_37wrapped_merge_sort_block_merge_configINS0_14default_configEtSC_EEEEvv.num_named_barrier, 0
	.set _ZN7rocprim17ROCPRIM_304000_NS6detail39device_merge_sort_compile_time_verifierINS1_36wrapped_merge_sort_block_sort_configINS1_28merge_sort_block_sort_configILj256ELj4ELNS0_20block_sort_algorithmE0EEEtN2at4cuda3cub6detail10OpaqueTypeILi8EEEEENS1_37wrapped_merge_sort_block_merge_configINS0_14default_configEtSC_EEEEvv.private_seg_size, 0
	.set _ZN7rocprim17ROCPRIM_304000_NS6detail39device_merge_sort_compile_time_verifierINS1_36wrapped_merge_sort_block_sort_configINS1_28merge_sort_block_sort_configILj256ELj4ELNS0_20block_sort_algorithmE0EEEtN2at4cuda3cub6detail10OpaqueTypeILi8EEEEENS1_37wrapped_merge_sort_block_merge_configINS0_14default_configEtSC_EEEEvv.uses_vcc, 0
	.set _ZN7rocprim17ROCPRIM_304000_NS6detail39device_merge_sort_compile_time_verifierINS1_36wrapped_merge_sort_block_sort_configINS1_28merge_sort_block_sort_configILj256ELj4ELNS0_20block_sort_algorithmE0EEEtN2at4cuda3cub6detail10OpaqueTypeILi8EEEEENS1_37wrapped_merge_sort_block_merge_configINS0_14default_configEtSC_EEEEvv.uses_flat_scratch, 0
	.set _ZN7rocprim17ROCPRIM_304000_NS6detail39device_merge_sort_compile_time_verifierINS1_36wrapped_merge_sort_block_sort_configINS1_28merge_sort_block_sort_configILj256ELj4ELNS0_20block_sort_algorithmE0EEEtN2at4cuda3cub6detail10OpaqueTypeILi8EEEEENS1_37wrapped_merge_sort_block_merge_configINS0_14default_configEtSC_EEEEvv.has_dyn_sized_stack, 0
	.set _ZN7rocprim17ROCPRIM_304000_NS6detail39device_merge_sort_compile_time_verifierINS1_36wrapped_merge_sort_block_sort_configINS1_28merge_sort_block_sort_configILj256ELj4ELNS0_20block_sort_algorithmE0EEEtN2at4cuda3cub6detail10OpaqueTypeILi8EEEEENS1_37wrapped_merge_sort_block_merge_configINS0_14default_configEtSC_EEEEvv.has_recursion, 0
	.set _ZN7rocprim17ROCPRIM_304000_NS6detail39device_merge_sort_compile_time_verifierINS1_36wrapped_merge_sort_block_sort_configINS1_28merge_sort_block_sort_configILj256ELj4ELNS0_20block_sort_algorithmE0EEEtN2at4cuda3cub6detail10OpaqueTypeILi8EEEEENS1_37wrapped_merge_sort_block_merge_configINS0_14default_configEtSC_EEEEvv.has_indirect_call, 0
	.section	.AMDGPU.csdata,"",@progbits
; Kernel info:
; codeLenInByte = 4
; TotalNumSgprs: 6
; NumVgprs: 0
; NumAgprs: 0
; TotalNumVgprs: 0
; ScratchSize: 0
; MemoryBound: 0
; FloatMode: 240
; IeeeMode: 1
; LDSByteSize: 0 bytes/workgroup (compile time only)
; SGPRBlocks: 0
; VGPRBlocks: 0
; NumSGPRsForWavesPerEU: 6
; NumVGPRsForWavesPerEU: 1
; AccumOffset: 4
; Occupancy: 8
; WaveLimiterHint : 0
; COMPUTE_PGM_RSRC2:SCRATCH_EN: 0
; COMPUTE_PGM_RSRC2:USER_SGPR: 0
; COMPUTE_PGM_RSRC2:TRAP_HANDLER: 0
; COMPUTE_PGM_RSRC2:TGID_X_EN: 1
; COMPUTE_PGM_RSRC2:TGID_Y_EN: 0
; COMPUTE_PGM_RSRC2:TGID_Z_EN: 0
; COMPUTE_PGM_RSRC2:TIDIG_COMP_CNT: 0
; COMPUTE_PGM_RSRC3_GFX90A:ACCUM_OFFSET: 0
; COMPUTE_PGM_RSRC3_GFX90A:TG_SPLIT: 0
	.section	.text._ZN7rocprim17ROCPRIM_304000_NS6detail45device_block_merge_mergepath_partition_kernelINS1_37wrapped_merge_sort_block_merge_configINS0_14default_configEtN2at4cuda3cub6detail10OpaqueTypeILi8EEEEEPtjNS1_19radix_merge_compareILb1ELb0EtNS0_19identity_decomposerEEEEEvT0_T1_jPSH_T2_SH_,"axG",@progbits,_ZN7rocprim17ROCPRIM_304000_NS6detail45device_block_merge_mergepath_partition_kernelINS1_37wrapped_merge_sort_block_merge_configINS0_14default_configEtN2at4cuda3cub6detail10OpaqueTypeILi8EEEEEPtjNS1_19radix_merge_compareILb1ELb0EtNS0_19identity_decomposerEEEEEvT0_T1_jPSH_T2_SH_,comdat
	.protected	_ZN7rocprim17ROCPRIM_304000_NS6detail45device_block_merge_mergepath_partition_kernelINS1_37wrapped_merge_sort_block_merge_configINS0_14default_configEtN2at4cuda3cub6detail10OpaqueTypeILi8EEEEEPtjNS1_19radix_merge_compareILb1ELb0EtNS0_19identity_decomposerEEEEEvT0_T1_jPSH_T2_SH_ ; -- Begin function _ZN7rocprim17ROCPRIM_304000_NS6detail45device_block_merge_mergepath_partition_kernelINS1_37wrapped_merge_sort_block_merge_configINS0_14default_configEtN2at4cuda3cub6detail10OpaqueTypeILi8EEEEEPtjNS1_19radix_merge_compareILb1ELb0EtNS0_19identity_decomposerEEEEEvT0_T1_jPSH_T2_SH_
	.globl	_ZN7rocprim17ROCPRIM_304000_NS6detail45device_block_merge_mergepath_partition_kernelINS1_37wrapped_merge_sort_block_merge_configINS0_14default_configEtN2at4cuda3cub6detail10OpaqueTypeILi8EEEEEPtjNS1_19radix_merge_compareILb1ELb0EtNS0_19identity_decomposerEEEEEvT0_T1_jPSH_T2_SH_
	.p2align	8
	.type	_ZN7rocprim17ROCPRIM_304000_NS6detail45device_block_merge_mergepath_partition_kernelINS1_37wrapped_merge_sort_block_merge_configINS0_14default_configEtN2at4cuda3cub6detail10OpaqueTypeILi8EEEEEPtjNS1_19radix_merge_compareILb1ELb0EtNS0_19identity_decomposerEEEEEvT0_T1_jPSH_T2_SH_,@function
_ZN7rocprim17ROCPRIM_304000_NS6detail45device_block_merge_mergepath_partition_kernelINS1_37wrapped_merge_sort_block_merge_configINS0_14default_configEtN2at4cuda3cub6detail10OpaqueTypeILi8EEEEEPtjNS1_19radix_merge_compareILb1ELb0EtNS0_19identity_decomposerEEEEEvT0_T1_jPSH_T2_SH_: ; @_ZN7rocprim17ROCPRIM_304000_NS6detail45device_block_merge_mergepath_partition_kernelINS1_37wrapped_merge_sort_block_merge_configINS0_14default_configEtN2at4cuda3cub6detail10OpaqueTypeILi8EEEEEPtjNS1_19radix_merge_compareILb1ELb0EtNS0_19identity_decomposerEEEEEvT0_T1_jPSH_T2_SH_
; %bb.0:
	s_load_dwordx2 s[4:5], s[0:1], 0x8
	v_lshl_or_b32 v0, s2, 7, v0
	s_waitcnt lgkmcnt(0)
	v_cmp_gt_u32_e32 vcc, s5, v0
	s_and_saveexec_b64 s[2:3], vcc
	s_cbranch_execz .LBB2_6
; %bb.1:
	s_load_dword s2, s[0:1], 0x1c
	s_waitcnt lgkmcnt(0)
	s_lshr_b32 s3, s2, 9
	s_and_b32 s3, s3, 0x7ffffe
	s_add_i32 s5, s3, -1
	s_sub_i32 s3, 0, s3
	v_and_b32_e32 v1, s3, v0
	v_and_b32_e32 v2, s5, v0
	v_lshlrev_b32_e32 v1, 10, v1
	v_lshlrev_b32_e32 v3, 10, v2
	v_min_u32_e32 v2, s4, v1
	v_add_u32_e32 v1, s2, v1
	v_min_u32_e32 v4, s4, v1
	v_add_u32_e32 v1, s2, v4
	v_min_u32_e32 v1, s4, v1
	v_sub_u32_e32 v5, v1, v2
	v_min_u32_e32 v10, v5, v3
	v_sub_u32_e32 v3, v4, v2
	v_sub_u32_e32 v1, v1, v4
	v_sub_u32_e64 v1, v10, v1 clamp
	v_min_u32_e32 v11, v10, v3
	v_cmp_lt_u32_e32 vcc, v1, v11
	s_and_saveexec_b64 s[2:3], vcc
	s_cbranch_execz .LBB2_5
; %bb.2:
	s_load_dwordx2 s[4:5], s[0:1], 0x0
	v_mov_b32_e32 v5, 0
	v_mov_b32_e32 v3, v5
	s_waitcnt lgkmcnt(0)
	v_lshl_add_u64 v[6:7], v[2:3], 1, s[4:5]
	v_lshl_add_u64 v[8:9], v[4:5], 1, s[4:5]
	s_mov_b64 s[4:5], 0
.LBB2_3:                                ; =>This Inner Loop Header: Depth=1
	v_add_u32_e32 v3, v11, v1
	v_lshrrev_b32_e32 v16, 1, v3
	v_and_b32_e32 v4, -2, v3
	v_mov_b32_e32 v13, v5
	v_xad_u32 v12, v16, -1, v10
	v_lshl_add_u64 v[14:15], v[6:7], 0, v[4:5]
	v_lshl_add_u64 v[12:13], v[12:13], 1, v[8:9]
	global_load_ushort v3, v[14:15], off
	global_load_ushort v4, v[12:13], off
	v_add_u32_e32 v12, 1, v16
	s_waitcnt vmcnt(0)
	v_cmp_gt_u16_e32 vcc, v4, v3
	s_nop 1
	v_cndmask_b32_e32 v11, v11, v16, vcc
	v_cndmask_b32_e32 v1, v12, v1, vcc
	v_cmp_ge_u32_e32 vcc, v1, v11
	s_or_b64 s[4:5], vcc, s[4:5]
	s_andn2_b64 exec, exec, s[4:5]
	s_cbranch_execnz .LBB2_3
; %bb.4:
	s_or_b64 exec, exec, s[4:5]
.LBB2_5:
	s_or_b64 exec, exec, s[2:3]
	s_load_dwordx2 s[0:1], s[0:1], 0x10
	v_add_u32_e32 v2, v1, v2
	v_mov_b32_e32 v1, 0
	s_waitcnt lgkmcnt(0)
	v_lshl_add_u64 v[0:1], v[0:1], 2, s[0:1]
	global_store_dword v[0:1], v2, off
.LBB2_6:
	s_endpgm
	.section	.rodata,"a",@progbits
	.p2align	6, 0x0
	.amdhsa_kernel _ZN7rocprim17ROCPRIM_304000_NS6detail45device_block_merge_mergepath_partition_kernelINS1_37wrapped_merge_sort_block_merge_configINS0_14default_configEtN2at4cuda3cub6detail10OpaqueTypeILi8EEEEEPtjNS1_19radix_merge_compareILb1ELb0EtNS0_19identity_decomposerEEEEEvT0_T1_jPSH_T2_SH_
		.amdhsa_group_segment_fixed_size 0
		.amdhsa_private_segment_fixed_size 0
		.amdhsa_kernarg_size 32
		.amdhsa_user_sgpr_count 2
		.amdhsa_user_sgpr_dispatch_ptr 0
		.amdhsa_user_sgpr_queue_ptr 0
		.amdhsa_user_sgpr_kernarg_segment_ptr 1
		.amdhsa_user_sgpr_dispatch_id 0
		.amdhsa_user_sgpr_kernarg_preload_length 0
		.amdhsa_user_sgpr_kernarg_preload_offset 0
		.amdhsa_user_sgpr_private_segment_size 0
		.amdhsa_uses_dynamic_stack 0
		.amdhsa_enable_private_segment 0
		.amdhsa_system_sgpr_workgroup_id_x 1
		.amdhsa_system_sgpr_workgroup_id_y 0
		.amdhsa_system_sgpr_workgroup_id_z 0
		.amdhsa_system_sgpr_workgroup_info 0
		.amdhsa_system_vgpr_workitem_id 0
		.amdhsa_next_free_vgpr 17
		.amdhsa_next_free_sgpr 6
		.amdhsa_accum_offset 20
		.amdhsa_reserve_vcc 1
		.amdhsa_float_round_mode_32 0
		.amdhsa_float_round_mode_16_64 0
		.amdhsa_float_denorm_mode_32 3
		.amdhsa_float_denorm_mode_16_64 3
		.amdhsa_dx10_clamp 1
		.amdhsa_ieee_mode 1
		.amdhsa_fp16_overflow 0
		.amdhsa_tg_split 0
		.amdhsa_exception_fp_ieee_invalid_op 0
		.amdhsa_exception_fp_denorm_src 0
		.amdhsa_exception_fp_ieee_div_zero 0
		.amdhsa_exception_fp_ieee_overflow 0
		.amdhsa_exception_fp_ieee_underflow 0
		.amdhsa_exception_fp_ieee_inexact 0
		.amdhsa_exception_int_div_zero 0
	.end_amdhsa_kernel
	.section	.text._ZN7rocprim17ROCPRIM_304000_NS6detail45device_block_merge_mergepath_partition_kernelINS1_37wrapped_merge_sort_block_merge_configINS0_14default_configEtN2at4cuda3cub6detail10OpaqueTypeILi8EEEEEPtjNS1_19radix_merge_compareILb1ELb0EtNS0_19identity_decomposerEEEEEvT0_T1_jPSH_T2_SH_,"axG",@progbits,_ZN7rocprim17ROCPRIM_304000_NS6detail45device_block_merge_mergepath_partition_kernelINS1_37wrapped_merge_sort_block_merge_configINS0_14default_configEtN2at4cuda3cub6detail10OpaqueTypeILi8EEEEEPtjNS1_19radix_merge_compareILb1ELb0EtNS0_19identity_decomposerEEEEEvT0_T1_jPSH_T2_SH_,comdat
.Lfunc_end2:
	.size	_ZN7rocprim17ROCPRIM_304000_NS6detail45device_block_merge_mergepath_partition_kernelINS1_37wrapped_merge_sort_block_merge_configINS0_14default_configEtN2at4cuda3cub6detail10OpaqueTypeILi8EEEEEPtjNS1_19radix_merge_compareILb1ELb0EtNS0_19identity_decomposerEEEEEvT0_T1_jPSH_T2_SH_, .Lfunc_end2-_ZN7rocprim17ROCPRIM_304000_NS6detail45device_block_merge_mergepath_partition_kernelINS1_37wrapped_merge_sort_block_merge_configINS0_14default_configEtN2at4cuda3cub6detail10OpaqueTypeILi8EEEEEPtjNS1_19radix_merge_compareILb1ELb0EtNS0_19identity_decomposerEEEEEvT0_T1_jPSH_T2_SH_
                                        ; -- End function
	.set _ZN7rocprim17ROCPRIM_304000_NS6detail45device_block_merge_mergepath_partition_kernelINS1_37wrapped_merge_sort_block_merge_configINS0_14default_configEtN2at4cuda3cub6detail10OpaqueTypeILi8EEEEEPtjNS1_19radix_merge_compareILb1ELb0EtNS0_19identity_decomposerEEEEEvT0_T1_jPSH_T2_SH_.num_vgpr, 17
	.set _ZN7rocprim17ROCPRIM_304000_NS6detail45device_block_merge_mergepath_partition_kernelINS1_37wrapped_merge_sort_block_merge_configINS0_14default_configEtN2at4cuda3cub6detail10OpaqueTypeILi8EEEEEPtjNS1_19radix_merge_compareILb1ELb0EtNS0_19identity_decomposerEEEEEvT0_T1_jPSH_T2_SH_.num_agpr, 0
	.set _ZN7rocprim17ROCPRIM_304000_NS6detail45device_block_merge_mergepath_partition_kernelINS1_37wrapped_merge_sort_block_merge_configINS0_14default_configEtN2at4cuda3cub6detail10OpaqueTypeILi8EEEEEPtjNS1_19radix_merge_compareILb1ELb0EtNS0_19identity_decomposerEEEEEvT0_T1_jPSH_T2_SH_.numbered_sgpr, 6
	.set _ZN7rocprim17ROCPRIM_304000_NS6detail45device_block_merge_mergepath_partition_kernelINS1_37wrapped_merge_sort_block_merge_configINS0_14default_configEtN2at4cuda3cub6detail10OpaqueTypeILi8EEEEEPtjNS1_19radix_merge_compareILb1ELb0EtNS0_19identity_decomposerEEEEEvT0_T1_jPSH_T2_SH_.num_named_barrier, 0
	.set _ZN7rocprim17ROCPRIM_304000_NS6detail45device_block_merge_mergepath_partition_kernelINS1_37wrapped_merge_sort_block_merge_configINS0_14default_configEtN2at4cuda3cub6detail10OpaqueTypeILi8EEEEEPtjNS1_19radix_merge_compareILb1ELb0EtNS0_19identity_decomposerEEEEEvT0_T1_jPSH_T2_SH_.private_seg_size, 0
	.set _ZN7rocprim17ROCPRIM_304000_NS6detail45device_block_merge_mergepath_partition_kernelINS1_37wrapped_merge_sort_block_merge_configINS0_14default_configEtN2at4cuda3cub6detail10OpaqueTypeILi8EEEEEPtjNS1_19radix_merge_compareILb1ELb0EtNS0_19identity_decomposerEEEEEvT0_T1_jPSH_T2_SH_.uses_vcc, 1
	.set _ZN7rocprim17ROCPRIM_304000_NS6detail45device_block_merge_mergepath_partition_kernelINS1_37wrapped_merge_sort_block_merge_configINS0_14default_configEtN2at4cuda3cub6detail10OpaqueTypeILi8EEEEEPtjNS1_19radix_merge_compareILb1ELb0EtNS0_19identity_decomposerEEEEEvT0_T1_jPSH_T2_SH_.uses_flat_scratch, 0
	.set _ZN7rocprim17ROCPRIM_304000_NS6detail45device_block_merge_mergepath_partition_kernelINS1_37wrapped_merge_sort_block_merge_configINS0_14default_configEtN2at4cuda3cub6detail10OpaqueTypeILi8EEEEEPtjNS1_19radix_merge_compareILb1ELb0EtNS0_19identity_decomposerEEEEEvT0_T1_jPSH_T2_SH_.has_dyn_sized_stack, 0
	.set _ZN7rocprim17ROCPRIM_304000_NS6detail45device_block_merge_mergepath_partition_kernelINS1_37wrapped_merge_sort_block_merge_configINS0_14default_configEtN2at4cuda3cub6detail10OpaqueTypeILi8EEEEEPtjNS1_19radix_merge_compareILb1ELb0EtNS0_19identity_decomposerEEEEEvT0_T1_jPSH_T2_SH_.has_recursion, 0
	.set _ZN7rocprim17ROCPRIM_304000_NS6detail45device_block_merge_mergepath_partition_kernelINS1_37wrapped_merge_sort_block_merge_configINS0_14default_configEtN2at4cuda3cub6detail10OpaqueTypeILi8EEEEEPtjNS1_19radix_merge_compareILb1ELb0EtNS0_19identity_decomposerEEEEEvT0_T1_jPSH_T2_SH_.has_indirect_call, 0
	.section	.AMDGPU.csdata,"",@progbits
; Kernel info:
; codeLenInByte = 324
; TotalNumSgprs: 12
; NumVgprs: 17
; NumAgprs: 0
; TotalNumVgprs: 17
; ScratchSize: 0
; MemoryBound: 0
; FloatMode: 240
; IeeeMode: 1
; LDSByteSize: 0 bytes/workgroup (compile time only)
; SGPRBlocks: 1
; VGPRBlocks: 2
; NumSGPRsForWavesPerEU: 12
; NumVGPRsForWavesPerEU: 17
; AccumOffset: 20
; Occupancy: 8
; WaveLimiterHint : 0
; COMPUTE_PGM_RSRC2:SCRATCH_EN: 0
; COMPUTE_PGM_RSRC2:USER_SGPR: 2
; COMPUTE_PGM_RSRC2:TRAP_HANDLER: 0
; COMPUTE_PGM_RSRC2:TGID_X_EN: 1
; COMPUTE_PGM_RSRC2:TGID_Y_EN: 0
; COMPUTE_PGM_RSRC2:TGID_Z_EN: 0
; COMPUTE_PGM_RSRC2:TIDIG_COMP_CNT: 0
; COMPUTE_PGM_RSRC3_GFX90A:ACCUM_OFFSET: 4
; COMPUTE_PGM_RSRC3_GFX90A:TG_SPLIT: 0
	.section	.text._ZN7rocprim17ROCPRIM_304000_NS6detail35device_block_merge_mergepath_kernelINS1_37wrapped_merge_sort_block_merge_configINS0_14default_configEtN2at4cuda3cub6detail10OpaqueTypeILi8EEEEEPtSC_PSA_SD_jNS1_19radix_merge_compareILb1ELb0EtNS0_19identity_decomposerEEEEEvT0_T1_T2_T3_T4_SL_jT5_PKSL_NS1_7vsmem_tE,"axG",@progbits,_ZN7rocprim17ROCPRIM_304000_NS6detail35device_block_merge_mergepath_kernelINS1_37wrapped_merge_sort_block_merge_configINS0_14default_configEtN2at4cuda3cub6detail10OpaqueTypeILi8EEEEEPtSC_PSA_SD_jNS1_19radix_merge_compareILb1ELb0EtNS0_19identity_decomposerEEEEEvT0_T1_T2_T3_T4_SL_jT5_PKSL_NS1_7vsmem_tE,comdat
	.protected	_ZN7rocprim17ROCPRIM_304000_NS6detail35device_block_merge_mergepath_kernelINS1_37wrapped_merge_sort_block_merge_configINS0_14default_configEtN2at4cuda3cub6detail10OpaqueTypeILi8EEEEEPtSC_PSA_SD_jNS1_19radix_merge_compareILb1ELb0EtNS0_19identity_decomposerEEEEEvT0_T1_T2_T3_T4_SL_jT5_PKSL_NS1_7vsmem_tE ; -- Begin function _ZN7rocprim17ROCPRIM_304000_NS6detail35device_block_merge_mergepath_kernelINS1_37wrapped_merge_sort_block_merge_configINS0_14default_configEtN2at4cuda3cub6detail10OpaqueTypeILi8EEEEEPtSC_PSA_SD_jNS1_19radix_merge_compareILb1ELb0EtNS0_19identity_decomposerEEEEEvT0_T1_T2_T3_T4_SL_jT5_PKSL_NS1_7vsmem_tE
	.globl	_ZN7rocprim17ROCPRIM_304000_NS6detail35device_block_merge_mergepath_kernelINS1_37wrapped_merge_sort_block_merge_configINS0_14default_configEtN2at4cuda3cub6detail10OpaqueTypeILi8EEEEEPtSC_PSA_SD_jNS1_19radix_merge_compareILb1ELb0EtNS0_19identity_decomposerEEEEEvT0_T1_T2_T3_T4_SL_jT5_PKSL_NS1_7vsmem_tE
	.p2align	8
	.type	_ZN7rocprim17ROCPRIM_304000_NS6detail35device_block_merge_mergepath_kernelINS1_37wrapped_merge_sort_block_merge_configINS0_14default_configEtN2at4cuda3cub6detail10OpaqueTypeILi8EEEEEPtSC_PSA_SD_jNS1_19radix_merge_compareILb1ELb0EtNS0_19identity_decomposerEEEEEvT0_T1_T2_T3_T4_SL_jT5_PKSL_NS1_7vsmem_tE,@function
_ZN7rocprim17ROCPRIM_304000_NS6detail35device_block_merge_mergepath_kernelINS1_37wrapped_merge_sort_block_merge_configINS0_14default_configEtN2at4cuda3cub6detail10OpaqueTypeILi8EEEEEPtSC_PSA_SD_jNS1_19radix_merge_compareILb1ELb0EtNS0_19identity_decomposerEEEEEvT0_T1_T2_T3_T4_SL_jT5_PKSL_NS1_7vsmem_tE: ; @_ZN7rocprim17ROCPRIM_304000_NS6detail35device_block_merge_mergepath_kernelINS1_37wrapped_merge_sort_block_merge_configINS0_14default_configEtN2at4cuda3cub6detail10OpaqueTypeILi8EEEEEPtSC_PSA_SD_jNS1_19radix_merge_compareILb1ELb0EtNS0_19identity_decomposerEEEEEvT0_T1_T2_T3_T4_SL_jT5_PKSL_NS1_7vsmem_tE
; %bb.0:
	s_load_dwordx2 s[26:27], s[0:1], 0x40
	s_load_dwordx4 s[12:15], s[0:1], 0x20
	s_add_u32 s24, s0, 64
	s_addc_u32 s25, s1, 0
	s_waitcnt lgkmcnt(0)
	s_mul_i32 s4, s27, s4
	s_add_i32 s3, s4, s3
	s_mul_i32 s3, s3, s26
	s_add_i32 s22, s3, s2
	s_cmp_ge_u32 s22, s14
	s_cbranch_scc1 .LBB3_51
; %bb.1:
	s_load_dwordx8 s[4:11], s[0:1], 0x0
	s_load_dwordx2 s[14:15], s[0:1], 0x30
	s_lshr_b32 s30, s12, 10
	s_cmp_lg_u32 s22, s30
	s_mov_b32 s23, 0
	s_cselect_b64 s[16:17], -1, 0
	s_lshl_b64 s[0:1], s[22:23], 2
	s_waitcnt lgkmcnt(0)
	s_add_u32 s0, s14, s0
	s_addc_u32 s1, s15, s1
	s_load_dwordx2 s[18:19], s[0:1], 0x0
	s_lshr_b32 s0, s13, 9
	s_and_b32 s0, s0, 0x7ffffe
	s_sub_i32 s0, 0, s0
	s_and_b32 s1, s22, s0
	s_lshl_b32 s3, s1, 10
	s_lshl_b32 s14, s22, 10
	;; [unrolled: 1-line block ×3, first 2 shown]
	s_sub_i32 s15, s14, s3
	s_add_i32 s1, s1, s13
	s_add_i32 s15, s1, s15
	s_waitcnt lgkmcnt(0)
	s_sub_i32 s20, s15, s18
	s_sub_i32 s15, s15, s19
	;; [unrolled: 1-line block ×3, first 2 shown]
	s_min_u32 s20, s12, s20
	s_addk_i32 s15, 0x400
	s_or_b32 s0, s22, s0
	s_min_u32 s3, s12, s1
	s_add_i32 s1, s1, s13
	s_cmp_eq_u32 s0, -1
	s_cselect_b32 s0, s1, s15
	s_cselect_b32 s1, s3, s19
	s_min_u32 s0, s0, s12
	s_mov_b32 s19, s23
	s_sub_i32 s15, s1, s18
	s_sub_i32 s27, s0, s20
	s_lshl_b64 s[0:1], s[18:19], 1
	s_add_u32 s0, s4, s0
	s_mov_b32 s21, s23
	s_addc_u32 s1, s5, s1
	s_lshl_b64 s[28:29], s[20:21], 1
	s_add_u32 s4, s4, s28
	s_addc_u32 s5, s5, s29
	s_cmp_lt_u32 s2, s26
	v_mov_b32_e32 v3, 0
	s_cselect_b32 s2, 12, 18
	global_load_dword v1, v3, s[24:25] offset:14
	s_add_u32 s2, s24, s2
	s_addc_u32 s3, s25, 0
	global_load_ushort v2, v3, s[2:3]
	v_cmp_gt_u32_e32 vcc, s15, v0
	s_cmp_eq_u32 s22, s30
	s_waitcnt vmcnt(1)
	v_lshrrev_b32_e32 v4, 16, v1
	v_and_b32_e32 v1, 0xffff, v1
	v_mul_lo_u32 v1, v1, v4
	s_waitcnt vmcnt(0)
	v_mul_lo_u32 v1, v1, v2
	v_lshlrev_b32_e32 v2, 1, v0
	v_add_u32_e32 v4, v1, v0
	s_cbranch_scc1 .LBB3_3
; %bb.2:
	v_subrev_u32_e32 v1, s15, v0
	v_lshlrev_b32_e32 v8, 1, v1
	v_mov_b32_e32 v9, v3
	v_lshl_add_u64 v[6:7], s[0:1], 0, v[2:3]
	v_lshl_add_u64 v[8:9], s[4:5], 0, v[8:9]
	v_cndmask_b32_e32 v7, v9, v7, vcc
	v_cndmask_b32_e32 v6, v8, v6, vcc
	v_mov_b32_e32 v5, v3
	v_subrev_co_u32_e32 v8, vcc, s15, v4
	v_mov_b32_e32 v9, v3
	global_load_ushort v1, v[6:7], off
	v_lshl_add_u64 v[6:7], v[4:5], 1, s[0:1]
	v_lshl_add_u64 v[8:9], v[8:9], 1, s[4:5]
	v_cndmask_b32_e32 v7, v9, v7, vcc
	v_cndmask_b32_e32 v6, v8, v6, vcc
	global_load_ushort v3, v[6:7], off
	s_mov_b32 s2, 0x5040100
	s_add_i32 s13, s27, s15
	s_waitcnt vmcnt(0)
	v_perm_b32 v1, v3, v1, s2
	s_cbranch_execz .LBB3_4
	s_branch .LBB3_9
.LBB3_3:
                                        ; implicit-def: $vgpr1
                                        ; implicit-def: $sgpr13
.LBB3_4:
	s_add_i32 s13, s27, s15
	v_cmp_gt_u32_e32 vcc, s13, v0
	v_mov_b32_e32 v1, 0
	s_and_saveexec_b64 s[2:3], vcc
	s_cbranch_execz .LBB3_6
; %bb.5:
	v_mov_b32_e32 v3, 0
	v_subrev_u32_e32 v1, s15, v0
	v_lshlrev_b32_e32 v8, 1, v1
	v_mov_b32_e32 v9, v3
	v_lshl_add_u64 v[6:7], s[0:1], 0, v[2:3]
	v_lshl_add_u64 v[8:9], s[4:5], 0, v[8:9]
	v_cmp_gt_u32_e32 vcc, s15, v0
	s_nop 1
	v_cndmask_b32_e32 v7, v9, v7, vcc
	v_cndmask_b32_e32 v6, v8, v6, vcc
	global_load_ushort v1, v[6:7], off
	s_waitcnt vmcnt(0)
	v_and_b32_e32 v1, 0xffff, v1
.LBB3_6:
	s_or_b64 exec, exec, s[2:3]
	v_cmp_gt_u32_e32 vcc, s13, v4
	s_and_saveexec_b64 s[2:3], vcc
	s_cbranch_execz .LBB3_8
; %bb.7:
	v_mov_b32_e32 v5, 0
	v_lshl_add_u64 v[6:7], v[4:5], 1, s[0:1]
	v_subrev_co_u32_e32 v4, vcc, s15, v4
	v_lshl_add_u64 v[4:5], v[4:5], 1, s[4:5]
	s_nop 0
	v_cndmask_b32_e32 v5, v5, v7, vcc
	v_cndmask_b32_e32 v4, v4, v6, vcc
	global_load_ushort v3, v[4:5], off
	s_mov_b32 s0, 0x5040100
	s_waitcnt vmcnt(0)
	v_perm_b32 v1, v3, v1, s0
.LBB3_8:
	s_or_b64 exec, exec, s[2:3]
.LBB3_9:
	v_min_u32_e32 v3, s13, v2
	v_sub_u32_e64 v4, v3, s27 clamp
	v_min_u32_e32 v5, s15, v3
	v_cmp_lt_u32_e32 vcc, v4, v5
	ds_write_b16 v2, v1
	ds_write_b16_d16_hi v2, v1 offset:1024
	s_waitcnt lgkmcnt(0)
	s_barrier
	s_and_saveexec_b64 s[0:1], vcc
	s_cbranch_execz .LBB3_13
; %bb.10:
	v_lshlrev_b32_e32 v6, 1, v3
	v_lshl_add_u32 v6, s15, 1, v6
	s_mov_b64 s[2:3], 0
.LBB3_11:                               ; =>This Inner Loop Header: Depth=1
	v_add_u32_e32 v7, v5, v4
	v_lshrrev_b32_e32 v8, 1, v7
	v_not_b32_e32 v9, v8
	v_and_b32_e32 v7, -2, v7
	v_lshl_add_u32 v9, v9, 1, v6
	ds_read_u16 v7, v7
	ds_read_u16 v9, v9
	v_add_u32_e32 v10, 1, v8
	s_waitcnt lgkmcnt(0)
	v_cmp_gt_u16_e32 vcc, v9, v7
	s_nop 1
	v_cndmask_b32_e32 v5, v5, v8, vcc
	v_cndmask_b32_e32 v4, v10, v4, vcc
	v_cmp_ge_u32_e32 vcc, v4, v5
	s_or_b64 s[2:3], vcc, s[2:3]
	s_andn2_b64 exec, exec, s[2:3]
	s_cbranch_execnz .LBB3_11
; %bb.12:
	s_or_b64 exec, exec, s[2:3]
.LBB3_13:
	s_or_b64 exec, exec, s[0:1]
	v_sub_u32_e32 v3, v3, v4
	v_add_u32_e32 v5, s15, v3
	v_cmp_ge_u32_e32 vcc, s15, v4
	v_cmp_ge_u32_e64 s[0:1], s13, v5
	s_or_b64 s[0:1], vcc, s[0:1]
	v_mov_b32_e32 v3, 0
	v_mov_b32_e32 v8, 0
	s_and_saveexec_b64 s[4:5], s[0:1]
	s_cbranch_execz .LBB3_19
; %bb.14:
	v_cmp_gt_u32_e32 vcc, s15, v4
                                        ; implicit-def: $vgpr1
	s_and_saveexec_b64 s[0:1], vcc
; %bb.15:
	v_lshlrev_b32_e32 v1, 1, v4
	ds_read_u16 v1, v1
; %bb.16:
	s_or_b64 exec, exec, s[0:1]
	v_cmp_le_u32_e64 s[0:1], s13, v5
	v_cmp_gt_u32_e64 s[2:3], s13, v5
                                        ; implicit-def: $vgpr3
	s_and_saveexec_b64 s[22:23], s[2:3]
; %bb.17:
	v_lshlrev_b32_e32 v3, 1, v5
	ds_read_u16 v3, v3
; %bb.18:
	s_or_b64 exec, exec, s[22:23]
	s_waitcnt lgkmcnt(0)
	v_cmp_le_u16_e64 s[2:3], v3, v1
	s_and_b64 s[2:3], vcc, s[2:3]
	s_or_b64 vcc, s[0:1], s[2:3]
	v_mov_b32_e32 v6, s13
	v_mov_b32_e32 v7, s15
	v_cndmask_b32_e32 v8, v5, v4, vcc
	v_cndmask_b32_e32 v6, v6, v7, vcc
	v_add_u32_e32 v7, 1, v8
	v_add_u32_e32 v6, -1, v6
	v_min_u32_e32 v6, v7, v6
	v_lshlrev_b32_e32 v6, 1, v6
	ds_read_u16 v6, v6
	v_cndmask_b32_e32 v9, v3, v1, vcc
	v_cndmask_b32_e32 v4, v4, v7, vcc
	v_cmp_gt_u32_e64 s[0:1], s15, v4
	s_waitcnt lgkmcnt(0)
	v_cndmask_b32_e32 v10, v6, v3, vcc
	v_cndmask_b32_e32 v1, v1, v6, vcc
	;; [unrolled: 1-line block ×3, first 2 shown]
	v_cmp_le_u16_e64 s[2:3], v10, v1
	v_cmp_le_u32_e32 vcc, s13, v3
	s_and_b64 s[0:1], s[0:1], s[2:3]
	s_or_b64 vcc, vcc, s[0:1]
	v_cndmask_b32_e32 v1, v10, v1, vcc
	s_mov_b32 s0, 0x5040100
	v_cndmask_b32_e32 v3, v3, v4, vcc
	v_perm_b32 v1, v1, v9, s0
.LBB3_19:
	s_or_b64 exec, exec, s[4:5]
	s_lshl_b64 s[0:1], s[18:19], 3
	s_add_u32 s18, s8, s0
	s_addc_u32 s19, s9, s1
	s_lshl_b64 s[0:1], s[20:21], 3
	s_add_u32 s8, s8, s0
	v_cndmask_b32_e64 v4, 0, 1, s[16:17]
	v_mov_b32_e32 v5, 0
	s_addc_u32 s9, s9, s1
	v_cmp_gt_u32_e64 s[4:5], s15, v0
	v_cmp_ne_u32_e64 s[0:1], 1, v4
	s_andn2_b64 vcc, exec, s[16:17]
	v_cmp_le_u32_e64 s[2:3], s15, v0
	s_barrier
	s_cbranch_vccnz .LBB3_21
; %bb.20:
	v_lshlrev_b32_e32 v4, 3, v0
	v_lshl_add_u64 v[6:7], s[18:19], 0, v[4:5]
	v_subrev_u32_e32 v4, s15, v0
	v_lshlrev_b32_e32 v4, 3, v4
	v_lshl_add_u64 v[4:5], s[8:9], 0, v[4:5]
	v_cndmask_b32_e64 v5, v5, v7, s[4:5]
	v_cndmask_b32_e64 v4, v4, v6, s[4:5]
	global_load_dwordx2 v[10:11], v[4:5], off
	v_or_b32_e32 v9, 0x200, v0
	v_mov_b32_e32 v4, s9
	v_mov_b32_e32 v5, s19
	;; [unrolled: 1-line block ×4, first 2 shown]
	v_subrev_u32_e32 v6, s15, v9
	v_cmp_gt_u32_e32 vcc, s15, v9
	v_mad_u32_u24 v7, v0, 6, v2
	s_nop 0
	v_cndmask_b32_e32 v5, v4, v5, vcc
	v_min_u32_e32 v6, v9, v6
	v_cndmask_b32_e32 v4, v12, v13, vcc
	s_mov_b64 s[4:5], -1
	s_waitcnt vmcnt(0)
	ds_write_b64 v7, v[10:11]
	s_cbranch_execz .LBB3_22
	s_branch .LBB3_31
.LBB3_21:
	s_mov_b64 s[4:5], 0
                                        ; implicit-def: $vgpr9
                                        ; implicit-def: $vgpr4_vgpr5
                                        ; implicit-def: $vgpr6
.LBB3_22:
	s_and_saveexec_b64 s[4:5], s[2:3]
	s_xor_b64 s[2:3], exec, s[4:5]
	s_cbranch_execz .LBB3_26
; %bb.23:
	v_subrev_u32_e32 v4, s15, v0
	v_cmp_gt_u32_e32 vcc, s27, v4
	s_and_saveexec_b64 s[4:5], vcc
	s_cbranch_execz .LBB3_25
; %bb.24:
	v_lshlrev_b32_e32 v4, 3, v4
	global_load_dwordx2 v[4:5], v4, s[8:9]
	v_mad_u32_u24 v6, v0, 6, v2
	s_waitcnt vmcnt(0)
	ds_write_b64 v6, v[4:5]
.LBB3_25:
	s_or_b64 exec, exec, s[4:5]
.LBB3_26:
	s_andn2_saveexec_b64 s[2:3], s[2:3]
	s_cbranch_execz .LBB3_28
; %bb.27:
	v_lshlrev_b32_e32 v4, 3, v0
	global_load_dwordx2 v[4:5], v4, s[18:19]
	v_mad_u32_u24 v6, v0, 6, v2
	s_waitcnt vmcnt(0)
	ds_write_b64 v6, v[4:5]
.LBB3_28:
	s_or_b64 exec, exec, s[2:3]
	v_or_b32_e32 v9, 0x200, v0
	v_cmp_le_u32_e32 vcc, s15, v9
	s_mov_b64 s[4:5], -1
	v_mov_b64_e32 v[4:5], s[18:19]
	v_mov_b32_e32 v6, v9
	s_and_saveexec_b64 s[2:3], vcc
; %bb.29:
	v_subrev_u32_e32 v6, s15, v9
	v_cmp_gt_u32_e32 vcc, s27, v6
	v_mov_b64_e32 v[4:5], s[8:9]
	s_orn2_b64 s[4:5], vcc, exec
; %bb.30:
	s_or_b64 exec, exec, s[2:3]
.LBB3_31:
	s_and_saveexec_b64 s[2:3], s[4:5]
	s_cbranch_execz .LBB3_33
; %bb.32:
	v_mov_b32_e32 v7, 0
	v_lshl_add_u64 v[4:5], v[6:7], 3, v[4:5]
	global_load_dwordx2 v[4:5], v[4:5], off
	v_lshlrev_b32_e32 v6, 3, v9
	s_waitcnt vmcnt(0)
	ds_write_b64 v6, v[4:5]
.LBB3_33:
	s_or_b64 exec, exec, s[2:3]
	s_and_b64 vcc, exec, s[0:1]
	v_add_u32_e32 v4, s14, v2
	s_waitcnt lgkmcnt(0)
	s_barrier
	s_cbranch_vccnz .LBB3_35
; %bb.34:
	v_lshlrev_b32_e32 v5, 3, v8
	ds_read_b64 v[6:7], v5
	v_mov_b32_e32 v5, 0
	v_lshl_add_u64 v[10:11], v[4:5], 3, s[10:11]
	s_mov_b64 s[0:1], -1
	s_waitcnt lgkmcnt(0)
	global_store_dwordx2 v[10:11], v[6:7], off
	s_cbranch_execz .LBB3_36
	s_branch .LBB3_41
.LBB3_35:
	s_mov_b64 s[0:1], 0
.LBB3_36:
	v_cmp_gt_u32_e32 vcc, s13, v2
	s_and_saveexec_b64 s[2:3], vcc
	s_cbranch_execz .LBB3_38
; %bb.37:
	v_lshlrev_b32_e32 v5, 3, v8
	ds_read_b64 v[6:7], v5
	v_mov_b32_e32 v5, 0
	v_lshl_add_u64 v[8:9], v[4:5], 3, s[10:11]
	s_waitcnt lgkmcnt(0)
	global_store_dwordx2 v[8:9], v[6:7], off
.LBB3_38:
	s_or_b64 exec, exec, s[2:3]
	v_or_b32_e32 v5, 1, v2
	v_cmp_gt_u32_e32 vcc, s13, v5
	s_and_saveexec_b64 s[2:3], vcc
; %bb.39:
	v_mov_b32_e32 v5, 0
	s_or_b64 s[0:1], s[0:1], exec
; %bb.40:
	s_or_b64 exec, exec, s[2:3]
.LBB3_41:
	s_and_saveexec_b64 s[2:3], s[0:1]
	s_cbranch_execz .LBB3_43
; %bb.42:
	v_lshlrev_b32_e32 v3, 3, v3
	ds_read_b64 v[6:7], v3
	v_lshl_add_u64 v[4:5], v[4:5], 3, s[10:11]
	s_waitcnt lgkmcnt(0)
	global_store_dwordx2 v[4:5], v[6:7], off offset:8
.LBB3_43:
	s_or_b64 exec, exec, s[2:3]
	v_lshrrev_b32_e32 v4, 3, v0
	v_and_b32_e32 v4, 60, v4
	v_lshrrev_b32_e32 v3, 4, v0
	v_lshl_add_u32 v4, v2, 1, v4
	s_barrier
	s_barrier
	ds_write_b32 v4, v1
	v_and_b32_e32 v1, 28, v3
	s_mov_b32 s15, 0
	v_add_u32_e32 v4, v1, v2
	v_or_b32_e32 v1, 0x200, v0
	s_lshl_b64 s[0:1], s[14:15], 1
	v_lshrrev_b32_e32 v3, 4, v1
	s_add_u32 s0, s6, s0
	v_and_b32_e32 v3, 60, v3
	s_addc_u32 s1, s7, s1
	v_add_u32_e32 v6, v3, v2
	v_mov_b32_e32 v3, 0
	v_lshl_add_u64 v[2:3], s[0:1], 0, v[2:3]
	s_and_b64 vcc, exec, s[16:17]
	s_waitcnt lgkmcnt(0)
	s_cbranch_vccz .LBB3_45
; %bb.44:
	s_barrier
	ds_read_u16 v7, v4
	ds_read_u16 v5, v6 offset:1024
	s_mov_b64 s[0:1], -1
	s_waitcnt lgkmcnt(1)
	global_store_short v[2:3], v7, off
	s_cbranch_execz .LBB3_46
	s_branch .LBB3_49
.LBB3_45:
	s_mov_b64 s[0:1], 0
                                        ; implicit-def: $vgpr5
.LBB3_46:
	s_barrier
	s_waitcnt lgkmcnt(0)
	ds_read_u16 v5, v6 offset:1024
	s_sub_i32 s2, s12, s14
	v_cmp_gt_u32_e32 vcc, s2, v0
	s_and_saveexec_b64 s[0:1], vcc
	s_cbranch_execz .LBB3_48
; %bb.47:
	ds_read_u16 v0, v4
	s_waitcnt lgkmcnt(0)
	global_store_short v[2:3], v0, off
.LBB3_48:
	s_or_b64 exec, exec, s[0:1]
	v_cmp_gt_u32_e64 s[0:1], s2, v1
.LBB3_49:
	s_and_saveexec_b64 s[2:3], s[0:1]
	s_cbranch_execz .LBB3_51
; %bb.50:
	s_waitcnt lgkmcnt(0)
	global_store_short v[2:3], v5, off offset:1024
.LBB3_51:
	s_endpgm
	.section	.rodata,"a",@progbits
	.p2align	6, 0x0
	.amdhsa_kernel _ZN7rocprim17ROCPRIM_304000_NS6detail35device_block_merge_mergepath_kernelINS1_37wrapped_merge_sort_block_merge_configINS0_14default_configEtN2at4cuda3cub6detail10OpaqueTypeILi8EEEEEPtSC_PSA_SD_jNS1_19radix_merge_compareILb1ELb0EtNS0_19identity_decomposerEEEEEvT0_T1_T2_T3_T4_SL_jT5_PKSL_NS1_7vsmem_tE
		.amdhsa_group_segment_fixed_size 8208
		.amdhsa_private_segment_fixed_size 0
		.amdhsa_kernarg_size 320
		.amdhsa_user_sgpr_count 2
		.amdhsa_user_sgpr_dispatch_ptr 0
		.amdhsa_user_sgpr_queue_ptr 0
		.amdhsa_user_sgpr_kernarg_segment_ptr 1
		.amdhsa_user_sgpr_dispatch_id 0
		.amdhsa_user_sgpr_kernarg_preload_length 0
		.amdhsa_user_sgpr_kernarg_preload_offset 0
		.amdhsa_user_sgpr_private_segment_size 0
		.amdhsa_uses_dynamic_stack 0
		.amdhsa_enable_private_segment 0
		.amdhsa_system_sgpr_workgroup_id_x 1
		.amdhsa_system_sgpr_workgroup_id_y 1
		.amdhsa_system_sgpr_workgroup_id_z 1
		.amdhsa_system_sgpr_workgroup_info 0
		.amdhsa_system_vgpr_workitem_id 0
		.amdhsa_next_free_vgpr 14
		.amdhsa_next_free_sgpr 31
		.amdhsa_accum_offset 16
		.amdhsa_reserve_vcc 1
		.amdhsa_float_round_mode_32 0
		.amdhsa_float_round_mode_16_64 0
		.amdhsa_float_denorm_mode_32 3
		.amdhsa_float_denorm_mode_16_64 3
		.amdhsa_dx10_clamp 1
		.amdhsa_ieee_mode 1
		.amdhsa_fp16_overflow 0
		.amdhsa_tg_split 0
		.amdhsa_exception_fp_ieee_invalid_op 0
		.amdhsa_exception_fp_denorm_src 0
		.amdhsa_exception_fp_ieee_div_zero 0
		.amdhsa_exception_fp_ieee_overflow 0
		.amdhsa_exception_fp_ieee_underflow 0
		.amdhsa_exception_fp_ieee_inexact 0
		.amdhsa_exception_int_div_zero 0
	.end_amdhsa_kernel
	.section	.text._ZN7rocprim17ROCPRIM_304000_NS6detail35device_block_merge_mergepath_kernelINS1_37wrapped_merge_sort_block_merge_configINS0_14default_configEtN2at4cuda3cub6detail10OpaqueTypeILi8EEEEEPtSC_PSA_SD_jNS1_19radix_merge_compareILb1ELb0EtNS0_19identity_decomposerEEEEEvT0_T1_T2_T3_T4_SL_jT5_PKSL_NS1_7vsmem_tE,"axG",@progbits,_ZN7rocprim17ROCPRIM_304000_NS6detail35device_block_merge_mergepath_kernelINS1_37wrapped_merge_sort_block_merge_configINS0_14default_configEtN2at4cuda3cub6detail10OpaqueTypeILi8EEEEEPtSC_PSA_SD_jNS1_19radix_merge_compareILb1ELb0EtNS0_19identity_decomposerEEEEEvT0_T1_T2_T3_T4_SL_jT5_PKSL_NS1_7vsmem_tE,comdat
.Lfunc_end3:
	.size	_ZN7rocprim17ROCPRIM_304000_NS6detail35device_block_merge_mergepath_kernelINS1_37wrapped_merge_sort_block_merge_configINS0_14default_configEtN2at4cuda3cub6detail10OpaqueTypeILi8EEEEEPtSC_PSA_SD_jNS1_19radix_merge_compareILb1ELb0EtNS0_19identity_decomposerEEEEEvT0_T1_T2_T3_T4_SL_jT5_PKSL_NS1_7vsmem_tE, .Lfunc_end3-_ZN7rocprim17ROCPRIM_304000_NS6detail35device_block_merge_mergepath_kernelINS1_37wrapped_merge_sort_block_merge_configINS0_14default_configEtN2at4cuda3cub6detail10OpaqueTypeILi8EEEEEPtSC_PSA_SD_jNS1_19radix_merge_compareILb1ELb0EtNS0_19identity_decomposerEEEEEvT0_T1_T2_T3_T4_SL_jT5_PKSL_NS1_7vsmem_tE
                                        ; -- End function
	.set _ZN7rocprim17ROCPRIM_304000_NS6detail35device_block_merge_mergepath_kernelINS1_37wrapped_merge_sort_block_merge_configINS0_14default_configEtN2at4cuda3cub6detail10OpaqueTypeILi8EEEEEPtSC_PSA_SD_jNS1_19radix_merge_compareILb1ELb0EtNS0_19identity_decomposerEEEEEvT0_T1_T2_T3_T4_SL_jT5_PKSL_NS1_7vsmem_tE.num_vgpr, 14
	.set _ZN7rocprim17ROCPRIM_304000_NS6detail35device_block_merge_mergepath_kernelINS1_37wrapped_merge_sort_block_merge_configINS0_14default_configEtN2at4cuda3cub6detail10OpaqueTypeILi8EEEEEPtSC_PSA_SD_jNS1_19radix_merge_compareILb1ELb0EtNS0_19identity_decomposerEEEEEvT0_T1_T2_T3_T4_SL_jT5_PKSL_NS1_7vsmem_tE.num_agpr, 0
	.set _ZN7rocprim17ROCPRIM_304000_NS6detail35device_block_merge_mergepath_kernelINS1_37wrapped_merge_sort_block_merge_configINS0_14default_configEtN2at4cuda3cub6detail10OpaqueTypeILi8EEEEEPtSC_PSA_SD_jNS1_19radix_merge_compareILb1ELb0EtNS0_19identity_decomposerEEEEEvT0_T1_T2_T3_T4_SL_jT5_PKSL_NS1_7vsmem_tE.numbered_sgpr, 31
	.set _ZN7rocprim17ROCPRIM_304000_NS6detail35device_block_merge_mergepath_kernelINS1_37wrapped_merge_sort_block_merge_configINS0_14default_configEtN2at4cuda3cub6detail10OpaqueTypeILi8EEEEEPtSC_PSA_SD_jNS1_19radix_merge_compareILb1ELb0EtNS0_19identity_decomposerEEEEEvT0_T1_T2_T3_T4_SL_jT5_PKSL_NS1_7vsmem_tE.num_named_barrier, 0
	.set _ZN7rocprim17ROCPRIM_304000_NS6detail35device_block_merge_mergepath_kernelINS1_37wrapped_merge_sort_block_merge_configINS0_14default_configEtN2at4cuda3cub6detail10OpaqueTypeILi8EEEEEPtSC_PSA_SD_jNS1_19radix_merge_compareILb1ELb0EtNS0_19identity_decomposerEEEEEvT0_T1_T2_T3_T4_SL_jT5_PKSL_NS1_7vsmem_tE.private_seg_size, 0
	.set _ZN7rocprim17ROCPRIM_304000_NS6detail35device_block_merge_mergepath_kernelINS1_37wrapped_merge_sort_block_merge_configINS0_14default_configEtN2at4cuda3cub6detail10OpaqueTypeILi8EEEEEPtSC_PSA_SD_jNS1_19radix_merge_compareILb1ELb0EtNS0_19identity_decomposerEEEEEvT0_T1_T2_T3_T4_SL_jT5_PKSL_NS1_7vsmem_tE.uses_vcc, 1
	.set _ZN7rocprim17ROCPRIM_304000_NS6detail35device_block_merge_mergepath_kernelINS1_37wrapped_merge_sort_block_merge_configINS0_14default_configEtN2at4cuda3cub6detail10OpaqueTypeILi8EEEEEPtSC_PSA_SD_jNS1_19radix_merge_compareILb1ELb0EtNS0_19identity_decomposerEEEEEvT0_T1_T2_T3_T4_SL_jT5_PKSL_NS1_7vsmem_tE.uses_flat_scratch, 0
	.set _ZN7rocprim17ROCPRIM_304000_NS6detail35device_block_merge_mergepath_kernelINS1_37wrapped_merge_sort_block_merge_configINS0_14default_configEtN2at4cuda3cub6detail10OpaqueTypeILi8EEEEEPtSC_PSA_SD_jNS1_19radix_merge_compareILb1ELb0EtNS0_19identity_decomposerEEEEEvT0_T1_T2_T3_T4_SL_jT5_PKSL_NS1_7vsmem_tE.has_dyn_sized_stack, 0
	.set _ZN7rocprim17ROCPRIM_304000_NS6detail35device_block_merge_mergepath_kernelINS1_37wrapped_merge_sort_block_merge_configINS0_14default_configEtN2at4cuda3cub6detail10OpaqueTypeILi8EEEEEPtSC_PSA_SD_jNS1_19radix_merge_compareILb1ELb0EtNS0_19identity_decomposerEEEEEvT0_T1_T2_T3_T4_SL_jT5_PKSL_NS1_7vsmem_tE.has_recursion, 0
	.set _ZN7rocprim17ROCPRIM_304000_NS6detail35device_block_merge_mergepath_kernelINS1_37wrapped_merge_sort_block_merge_configINS0_14default_configEtN2at4cuda3cub6detail10OpaqueTypeILi8EEEEEPtSC_PSA_SD_jNS1_19radix_merge_compareILb1ELb0EtNS0_19identity_decomposerEEEEEvT0_T1_T2_T3_T4_SL_jT5_PKSL_NS1_7vsmem_tE.has_indirect_call, 0
	.section	.AMDGPU.csdata,"",@progbits
; Kernel info:
; codeLenInByte = 1868
; TotalNumSgprs: 37
; NumVgprs: 14
; NumAgprs: 0
; TotalNumVgprs: 14
; ScratchSize: 0
; MemoryBound: 0
; FloatMode: 240
; IeeeMode: 1
; LDSByteSize: 8208 bytes/workgroup (compile time only)
; SGPRBlocks: 4
; VGPRBlocks: 1
; NumSGPRsForWavesPerEU: 37
; NumVGPRsForWavesPerEU: 14
; AccumOffset: 16
; Occupancy: 8
; WaveLimiterHint : 1
; COMPUTE_PGM_RSRC2:SCRATCH_EN: 0
; COMPUTE_PGM_RSRC2:USER_SGPR: 2
; COMPUTE_PGM_RSRC2:TRAP_HANDLER: 0
; COMPUTE_PGM_RSRC2:TGID_X_EN: 1
; COMPUTE_PGM_RSRC2:TGID_Y_EN: 1
; COMPUTE_PGM_RSRC2:TGID_Z_EN: 1
; COMPUTE_PGM_RSRC2:TIDIG_COMP_CNT: 0
; COMPUTE_PGM_RSRC3_GFX90A:ACCUM_OFFSET: 3
; COMPUTE_PGM_RSRC3_GFX90A:TG_SPLIT: 0
	.section	.text._ZN7rocprim17ROCPRIM_304000_NS6detail33device_block_merge_oddeven_kernelINS1_37wrapped_merge_sort_block_merge_configINS0_14default_configEtN2at4cuda3cub6detail10OpaqueTypeILi8EEEEEPtSC_PSA_SD_jNS1_19radix_merge_compareILb1ELb0EtNS0_19identity_decomposerEEEEEvT0_T1_T2_T3_T4_SL_T5_,"axG",@progbits,_ZN7rocprim17ROCPRIM_304000_NS6detail33device_block_merge_oddeven_kernelINS1_37wrapped_merge_sort_block_merge_configINS0_14default_configEtN2at4cuda3cub6detail10OpaqueTypeILi8EEEEEPtSC_PSA_SD_jNS1_19radix_merge_compareILb1ELb0EtNS0_19identity_decomposerEEEEEvT0_T1_T2_T3_T4_SL_T5_,comdat
	.protected	_ZN7rocprim17ROCPRIM_304000_NS6detail33device_block_merge_oddeven_kernelINS1_37wrapped_merge_sort_block_merge_configINS0_14default_configEtN2at4cuda3cub6detail10OpaqueTypeILi8EEEEEPtSC_PSA_SD_jNS1_19radix_merge_compareILb1ELb0EtNS0_19identity_decomposerEEEEEvT0_T1_T2_T3_T4_SL_T5_ ; -- Begin function _ZN7rocprim17ROCPRIM_304000_NS6detail33device_block_merge_oddeven_kernelINS1_37wrapped_merge_sort_block_merge_configINS0_14default_configEtN2at4cuda3cub6detail10OpaqueTypeILi8EEEEEPtSC_PSA_SD_jNS1_19radix_merge_compareILb1ELb0EtNS0_19identity_decomposerEEEEEvT0_T1_T2_T3_T4_SL_T5_
	.globl	_ZN7rocprim17ROCPRIM_304000_NS6detail33device_block_merge_oddeven_kernelINS1_37wrapped_merge_sort_block_merge_configINS0_14default_configEtN2at4cuda3cub6detail10OpaqueTypeILi8EEEEEPtSC_PSA_SD_jNS1_19radix_merge_compareILb1ELb0EtNS0_19identity_decomposerEEEEEvT0_T1_T2_T3_T4_SL_T5_
	.p2align	8
	.type	_ZN7rocprim17ROCPRIM_304000_NS6detail33device_block_merge_oddeven_kernelINS1_37wrapped_merge_sort_block_merge_configINS0_14default_configEtN2at4cuda3cub6detail10OpaqueTypeILi8EEEEEPtSC_PSA_SD_jNS1_19radix_merge_compareILb1ELb0EtNS0_19identity_decomposerEEEEEvT0_T1_T2_T3_T4_SL_T5_,@function
_ZN7rocprim17ROCPRIM_304000_NS6detail33device_block_merge_oddeven_kernelINS1_37wrapped_merge_sort_block_merge_configINS0_14default_configEtN2at4cuda3cub6detail10OpaqueTypeILi8EEEEEPtSC_PSA_SD_jNS1_19radix_merge_compareILb1ELb0EtNS0_19identity_decomposerEEEEEvT0_T1_T2_T3_T4_SL_T5_: ; @_ZN7rocprim17ROCPRIM_304000_NS6detail33device_block_merge_oddeven_kernelINS1_37wrapped_merge_sort_block_merge_configINS0_14default_configEtN2at4cuda3cub6detail10OpaqueTypeILi8EEEEEPtSC_PSA_SD_jNS1_19radix_merge_compareILb1ELb0EtNS0_19identity_decomposerEEEEEvT0_T1_T2_T3_T4_SL_T5_
; %bb.0:
	s_load_dwordx2 s[16:17], s[0:1], 0x20
	s_waitcnt lgkmcnt(0)
	s_lshr_b32 s3, s16, 8
	s_cmp_eq_u32 s2, s3
	s_cselect_b64 s[6:7], -1, 0
	s_cmp_lg_u32 s2, s3
	s_cselect_b64 s[8:9], -1, 0
	s_lshl_b32 s18, s2, 8
	s_sub_i32 s3, s16, s18
	v_cmp_gt_u32_e64 s[4:5], s3, v0
	s_or_b64 s[8:9], s[8:9], s[4:5]
	s_and_saveexec_b64 s[10:11], s[8:9]
	s_cbranch_execz .LBB4_24
; %bb.1:
	s_load_dwordx8 s[8:15], s[0:1], 0x0
	s_mov_b32 s19, 0
	s_lshl_b64 s[0:1], s[18:19], 1
	v_lshlrev_b32_e32 v5, 3, v0
	v_lshlrev_b32_e32 v1, 1, v0
	s_waitcnt lgkmcnt(0)
	s_add_u32 s0, s8, s0
	s_addc_u32 s1, s9, s1
	s_lshl_b64 s[20:21], s[18:19], 3
	s_add_u32 s12, s12, s20
	s_addc_u32 s13, s13, s21
	global_load_dwordx2 v[2:3], v5, s[12:13]
	global_load_ushort v4, v1, s[0:1]
	s_lshr_b32 s0, s17, 8
	s_sub_i32 s1, 0, s0
	s_and_b32 s1, s2, s1
	s_and_b32 s0, s1, s0
	s_lshl_b32 s19, s1, 8
	s_sub_i32 s12, 0, s17
	s_cmp_eq_u32 s0, 0
	s_cselect_b64 s[0:1], -1, 0
	s_and_b64 s[2:3], s[0:1], exec
	s_cselect_b32 s12, s17, s12
	s_add_i32 s12, s12, s19
	s_mov_b64 s[2:3], -1
	s_cmp_gt_u32 s16, s12
	v_add_u32_e32 v0, s18, v0
	s_cbranch_scc1 .LBB4_9
; %bb.2:
	s_and_b64 vcc, exec, s[6:7]
	s_cbranch_vccz .LBB4_6
; %bb.3:
	v_cmp_gt_u32_e32 vcc, s16, v0
	s_and_saveexec_b64 s[2:3], vcc
	s_cbranch_execz .LBB4_5
; %bb.4:
	v_mov_b32_e32 v1, 0
	v_lshl_add_u64 v[8:9], v[0:1], 1, s[10:11]
	v_lshl_add_u64 v[6:7], v[0:1], 3, s[14:15]
	s_waitcnt vmcnt(0)
	global_store_short v[8:9], v4, off
	global_store_dwordx2 v[6:7], v[2:3], off
.LBB4_5:
	s_or_b64 exec, exec, s[2:3]
	s_mov_b64 s[2:3], 0
.LBB4_6:
	s_andn2_b64 vcc, exec, s[2:3]
	s_cbranch_vccnz .LBB4_8
; %bb.7:
	v_mov_b32_e32 v1, 0
	v_lshl_add_u64 v[6:7], v[0:1], 1, s[10:11]
	v_lshl_add_u64 v[8:9], v[0:1], 3, s[14:15]
	s_waitcnt vmcnt(0)
	global_store_short v[6:7], v4, off
	global_store_dwordx2 v[8:9], v[2:3], off
.LBB4_8:
	s_mov_b64 s[2:3], 0
.LBB4_9:
	s_andn2_b64 vcc, exec, s[2:3]
	s_cbranch_vccnz .LBB4_24
; %bb.10:
	s_min_u32 s13, s12, s16
	s_add_i32 s2, s13, s17
	s_min_u32 s16, s2, s16
	s_min_u32 s2, s19, s13
	s_add_i32 s19, s19, s13
	v_subrev_u32_e32 v0, s19, v0
	v_add_u32_e32 v0, s2, v0
	s_andn2_b64 vcc, exec, s[6:7]
	s_mov_b64 s[2:3], -1
	s_cbranch_vccnz .LBB4_18
; %bb.11:
	s_and_saveexec_b64 s[2:3], s[4:5]
	s_cbranch_execz .LBB4_17
; %bb.12:
	s_cmp_ge_u32 s12, s16
	v_mov_b32_e32 v1, s13
	s_cbranch_scc1 .LBB4_16
; %bb.13:
	s_mov_b64 s[4:5], 0
	v_mov_b32_e32 v5, s16
	v_mov_b32_e32 v1, s13
.LBB4_14:                               ; =>This Inner Loop Header: Depth=1
	v_add_u32_e32 v6, v1, v5
	v_and_b32_e32 v7, -2, v6
	global_load_ushort v7, v7, s[8:9]
	v_lshrrev_b32_e32 v6, 1, v6
	v_add_u32_e32 v8, 1, v6
	s_waitcnt vmcnt(0)
	v_cmp_gt_u16_e32 vcc, v7, v4
	s_nop 1
	v_cndmask_b32_e64 v9, 0, 1, vcc
	v_cmp_le_u16_e32 vcc, v4, v7
	s_nop 1
	v_cndmask_b32_e64 v7, 0, 1, vcc
	v_cndmask_b32_e64 v7, v7, v9, s[0:1]
	v_and_b32_e32 v7, 1, v7
	v_cmp_eq_u32_e32 vcc, 1, v7
	s_nop 1
	v_cndmask_b32_e32 v5, v6, v5, vcc
	v_cndmask_b32_e32 v1, v1, v8, vcc
	v_cmp_ge_u32_e32 vcc, v1, v5
	s_or_b64 s[4:5], vcc, s[4:5]
	s_andn2_b64 exec, exec, s[4:5]
	s_cbranch_execnz .LBB4_14
; %bb.15:
	s_or_b64 exec, exec, s[4:5]
.LBB4_16:
	v_add_u32_e32 v6, v1, v0
	v_mov_b32_e32 v7, 0
	v_lshl_add_u64 v[8:9], v[6:7], 1, s[10:11]
	v_lshl_add_u64 v[6:7], v[6:7], 3, s[14:15]
	s_waitcnt vmcnt(0)
	global_store_short v[8:9], v4, off
	global_store_dwordx2 v[6:7], v[2:3], off
.LBB4_17:
	s_or_b64 exec, exec, s[2:3]
	s_mov_b64 s[2:3], 0
.LBB4_18:
	s_andn2_b64 vcc, exec, s[2:3]
	s_cbranch_vccnz .LBB4_24
; %bb.19:
	s_cmp_ge_u32 s12, s16
	v_mov_b32_e32 v1, s13
	s_cbranch_scc1 .LBB4_23
; %bb.20:
	s_mov_b64 s[2:3], 0
	v_mov_b32_e32 v5, s16
	v_mov_b32_e32 v1, s13
.LBB4_21:                               ; =>This Inner Loop Header: Depth=1
	v_add_u32_e32 v6, v1, v5
	v_and_b32_e32 v7, -2, v6
	global_load_ushort v7, v7, s[8:9]
	v_lshrrev_b32_e32 v6, 1, v6
	v_add_u32_e32 v8, 1, v6
	s_waitcnt vmcnt(0)
	v_cmp_gt_u16_e32 vcc, v7, v4
	s_nop 1
	v_cndmask_b32_e64 v9, 0, 1, vcc
	v_cmp_le_u16_e32 vcc, v4, v7
	s_nop 1
	v_cndmask_b32_e64 v7, 0, 1, vcc
	v_cndmask_b32_e64 v7, v7, v9, s[0:1]
	v_and_b32_e32 v7, 1, v7
	v_cmp_eq_u32_e32 vcc, 1, v7
	s_nop 1
	v_cndmask_b32_e32 v5, v6, v5, vcc
	v_cndmask_b32_e32 v1, v1, v8, vcc
	v_cmp_ge_u32_e32 vcc, v1, v5
	s_or_b64 s[2:3], vcc, s[2:3]
	s_andn2_b64 exec, exec, s[2:3]
	s_cbranch_execnz .LBB4_21
; %bb.22:
	s_or_b64 exec, exec, s[2:3]
.LBB4_23:
	v_add_u32_e32 v0, v1, v0
	v_mov_b32_e32 v1, 0
	v_lshl_add_u64 v[6:7], v[0:1], 1, s[10:11]
	v_lshl_add_u64 v[0:1], v[0:1], 3, s[14:15]
	s_waitcnt vmcnt(0)
	global_store_short v[6:7], v4, off
	global_store_dwordx2 v[0:1], v[2:3], off
.LBB4_24:
	s_endpgm
	.section	.rodata,"a",@progbits
	.p2align	6, 0x0
	.amdhsa_kernel _ZN7rocprim17ROCPRIM_304000_NS6detail33device_block_merge_oddeven_kernelINS1_37wrapped_merge_sort_block_merge_configINS0_14default_configEtN2at4cuda3cub6detail10OpaqueTypeILi8EEEEEPtSC_PSA_SD_jNS1_19radix_merge_compareILb1ELb0EtNS0_19identity_decomposerEEEEEvT0_T1_T2_T3_T4_SL_T5_
		.amdhsa_group_segment_fixed_size 0
		.amdhsa_private_segment_fixed_size 0
		.amdhsa_kernarg_size 44
		.amdhsa_user_sgpr_count 2
		.amdhsa_user_sgpr_dispatch_ptr 0
		.amdhsa_user_sgpr_queue_ptr 0
		.amdhsa_user_sgpr_kernarg_segment_ptr 1
		.amdhsa_user_sgpr_dispatch_id 0
		.amdhsa_user_sgpr_kernarg_preload_length 0
		.amdhsa_user_sgpr_kernarg_preload_offset 0
		.amdhsa_user_sgpr_private_segment_size 0
		.amdhsa_uses_dynamic_stack 0
		.amdhsa_enable_private_segment 0
		.amdhsa_system_sgpr_workgroup_id_x 1
		.amdhsa_system_sgpr_workgroup_id_y 0
		.amdhsa_system_sgpr_workgroup_id_z 0
		.amdhsa_system_sgpr_workgroup_info 0
		.amdhsa_system_vgpr_workitem_id 0
		.amdhsa_next_free_vgpr 10
		.amdhsa_next_free_sgpr 22
		.amdhsa_accum_offset 12
		.amdhsa_reserve_vcc 1
		.amdhsa_float_round_mode_32 0
		.amdhsa_float_round_mode_16_64 0
		.amdhsa_float_denorm_mode_32 3
		.amdhsa_float_denorm_mode_16_64 3
		.amdhsa_dx10_clamp 1
		.amdhsa_ieee_mode 1
		.amdhsa_fp16_overflow 0
		.amdhsa_tg_split 0
		.amdhsa_exception_fp_ieee_invalid_op 0
		.amdhsa_exception_fp_denorm_src 0
		.amdhsa_exception_fp_ieee_div_zero 0
		.amdhsa_exception_fp_ieee_overflow 0
		.amdhsa_exception_fp_ieee_underflow 0
		.amdhsa_exception_fp_ieee_inexact 0
		.amdhsa_exception_int_div_zero 0
	.end_amdhsa_kernel
	.section	.text._ZN7rocprim17ROCPRIM_304000_NS6detail33device_block_merge_oddeven_kernelINS1_37wrapped_merge_sort_block_merge_configINS0_14default_configEtN2at4cuda3cub6detail10OpaqueTypeILi8EEEEEPtSC_PSA_SD_jNS1_19radix_merge_compareILb1ELb0EtNS0_19identity_decomposerEEEEEvT0_T1_T2_T3_T4_SL_T5_,"axG",@progbits,_ZN7rocprim17ROCPRIM_304000_NS6detail33device_block_merge_oddeven_kernelINS1_37wrapped_merge_sort_block_merge_configINS0_14default_configEtN2at4cuda3cub6detail10OpaqueTypeILi8EEEEEPtSC_PSA_SD_jNS1_19radix_merge_compareILb1ELb0EtNS0_19identity_decomposerEEEEEvT0_T1_T2_T3_T4_SL_T5_,comdat
.Lfunc_end4:
	.size	_ZN7rocprim17ROCPRIM_304000_NS6detail33device_block_merge_oddeven_kernelINS1_37wrapped_merge_sort_block_merge_configINS0_14default_configEtN2at4cuda3cub6detail10OpaqueTypeILi8EEEEEPtSC_PSA_SD_jNS1_19radix_merge_compareILb1ELb0EtNS0_19identity_decomposerEEEEEvT0_T1_T2_T3_T4_SL_T5_, .Lfunc_end4-_ZN7rocprim17ROCPRIM_304000_NS6detail33device_block_merge_oddeven_kernelINS1_37wrapped_merge_sort_block_merge_configINS0_14default_configEtN2at4cuda3cub6detail10OpaqueTypeILi8EEEEEPtSC_PSA_SD_jNS1_19radix_merge_compareILb1ELb0EtNS0_19identity_decomposerEEEEEvT0_T1_T2_T3_T4_SL_T5_
                                        ; -- End function
	.set _ZN7rocprim17ROCPRIM_304000_NS6detail33device_block_merge_oddeven_kernelINS1_37wrapped_merge_sort_block_merge_configINS0_14default_configEtN2at4cuda3cub6detail10OpaqueTypeILi8EEEEEPtSC_PSA_SD_jNS1_19radix_merge_compareILb1ELb0EtNS0_19identity_decomposerEEEEEvT0_T1_T2_T3_T4_SL_T5_.num_vgpr, 10
	.set _ZN7rocprim17ROCPRIM_304000_NS6detail33device_block_merge_oddeven_kernelINS1_37wrapped_merge_sort_block_merge_configINS0_14default_configEtN2at4cuda3cub6detail10OpaqueTypeILi8EEEEEPtSC_PSA_SD_jNS1_19radix_merge_compareILb1ELb0EtNS0_19identity_decomposerEEEEEvT0_T1_T2_T3_T4_SL_T5_.num_agpr, 0
	.set _ZN7rocprim17ROCPRIM_304000_NS6detail33device_block_merge_oddeven_kernelINS1_37wrapped_merge_sort_block_merge_configINS0_14default_configEtN2at4cuda3cub6detail10OpaqueTypeILi8EEEEEPtSC_PSA_SD_jNS1_19radix_merge_compareILb1ELb0EtNS0_19identity_decomposerEEEEEvT0_T1_T2_T3_T4_SL_T5_.numbered_sgpr, 22
	.set _ZN7rocprim17ROCPRIM_304000_NS6detail33device_block_merge_oddeven_kernelINS1_37wrapped_merge_sort_block_merge_configINS0_14default_configEtN2at4cuda3cub6detail10OpaqueTypeILi8EEEEEPtSC_PSA_SD_jNS1_19radix_merge_compareILb1ELb0EtNS0_19identity_decomposerEEEEEvT0_T1_T2_T3_T4_SL_T5_.num_named_barrier, 0
	.set _ZN7rocprim17ROCPRIM_304000_NS6detail33device_block_merge_oddeven_kernelINS1_37wrapped_merge_sort_block_merge_configINS0_14default_configEtN2at4cuda3cub6detail10OpaqueTypeILi8EEEEEPtSC_PSA_SD_jNS1_19radix_merge_compareILb1ELb0EtNS0_19identity_decomposerEEEEEvT0_T1_T2_T3_T4_SL_T5_.private_seg_size, 0
	.set _ZN7rocprim17ROCPRIM_304000_NS6detail33device_block_merge_oddeven_kernelINS1_37wrapped_merge_sort_block_merge_configINS0_14default_configEtN2at4cuda3cub6detail10OpaqueTypeILi8EEEEEPtSC_PSA_SD_jNS1_19radix_merge_compareILb1ELb0EtNS0_19identity_decomposerEEEEEvT0_T1_T2_T3_T4_SL_T5_.uses_vcc, 1
	.set _ZN7rocprim17ROCPRIM_304000_NS6detail33device_block_merge_oddeven_kernelINS1_37wrapped_merge_sort_block_merge_configINS0_14default_configEtN2at4cuda3cub6detail10OpaqueTypeILi8EEEEEPtSC_PSA_SD_jNS1_19radix_merge_compareILb1ELb0EtNS0_19identity_decomposerEEEEEvT0_T1_T2_T3_T4_SL_T5_.uses_flat_scratch, 0
	.set _ZN7rocprim17ROCPRIM_304000_NS6detail33device_block_merge_oddeven_kernelINS1_37wrapped_merge_sort_block_merge_configINS0_14default_configEtN2at4cuda3cub6detail10OpaqueTypeILi8EEEEEPtSC_PSA_SD_jNS1_19radix_merge_compareILb1ELb0EtNS0_19identity_decomposerEEEEEvT0_T1_T2_T3_T4_SL_T5_.has_dyn_sized_stack, 0
	.set _ZN7rocprim17ROCPRIM_304000_NS6detail33device_block_merge_oddeven_kernelINS1_37wrapped_merge_sort_block_merge_configINS0_14default_configEtN2at4cuda3cub6detail10OpaqueTypeILi8EEEEEPtSC_PSA_SD_jNS1_19radix_merge_compareILb1ELb0EtNS0_19identity_decomposerEEEEEvT0_T1_T2_T3_T4_SL_T5_.has_recursion, 0
	.set _ZN7rocprim17ROCPRIM_304000_NS6detail33device_block_merge_oddeven_kernelINS1_37wrapped_merge_sort_block_merge_configINS0_14default_configEtN2at4cuda3cub6detail10OpaqueTypeILi8EEEEEPtSC_PSA_SD_jNS1_19radix_merge_compareILb1ELb0EtNS0_19identity_decomposerEEEEEvT0_T1_T2_T3_T4_SL_T5_.has_indirect_call, 0
	.section	.AMDGPU.csdata,"",@progbits
; Kernel info:
; codeLenInByte = 732
; TotalNumSgprs: 28
; NumVgprs: 10
; NumAgprs: 0
; TotalNumVgprs: 10
; ScratchSize: 0
; MemoryBound: 0
; FloatMode: 240
; IeeeMode: 1
; LDSByteSize: 0 bytes/workgroup (compile time only)
; SGPRBlocks: 3
; VGPRBlocks: 1
; NumSGPRsForWavesPerEU: 28
; NumVGPRsForWavesPerEU: 10
; AccumOffset: 12
; Occupancy: 8
; WaveLimiterHint : 0
; COMPUTE_PGM_RSRC2:SCRATCH_EN: 0
; COMPUTE_PGM_RSRC2:USER_SGPR: 2
; COMPUTE_PGM_RSRC2:TRAP_HANDLER: 0
; COMPUTE_PGM_RSRC2:TGID_X_EN: 1
; COMPUTE_PGM_RSRC2:TGID_Y_EN: 0
; COMPUTE_PGM_RSRC2:TGID_Z_EN: 0
; COMPUTE_PGM_RSRC2:TIDIG_COMP_CNT: 0
; COMPUTE_PGM_RSRC3_GFX90A:ACCUM_OFFSET: 2
; COMPUTE_PGM_RSRC3_GFX90A:TG_SPLIT: 0
	.section	.text._ZN7rocprim17ROCPRIM_304000_NS6detail16transform_kernelINS1_24wrapped_transform_configINS0_14default_configEtEEtPtS6_NS0_8identityItEEEEvT1_mT2_T3_,"axG",@progbits,_ZN7rocprim17ROCPRIM_304000_NS6detail16transform_kernelINS1_24wrapped_transform_configINS0_14default_configEtEEtPtS6_NS0_8identityItEEEEvT1_mT2_T3_,comdat
	.protected	_ZN7rocprim17ROCPRIM_304000_NS6detail16transform_kernelINS1_24wrapped_transform_configINS0_14default_configEtEEtPtS6_NS0_8identityItEEEEvT1_mT2_T3_ ; -- Begin function _ZN7rocprim17ROCPRIM_304000_NS6detail16transform_kernelINS1_24wrapped_transform_configINS0_14default_configEtEEtPtS6_NS0_8identityItEEEEvT1_mT2_T3_
	.globl	_ZN7rocprim17ROCPRIM_304000_NS6detail16transform_kernelINS1_24wrapped_transform_configINS0_14default_configEtEEtPtS6_NS0_8identityItEEEEvT1_mT2_T3_
	.p2align	8
	.type	_ZN7rocprim17ROCPRIM_304000_NS6detail16transform_kernelINS1_24wrapped_transform_configINS0_14default_configEtEEtPtS6_NS0_8identityItEEEEvT1_mT2_T3_,@function
_ZN7rocprim17ROCPRIM_304000_NS6detail16transform_kernelINS1_24wrapped_transform_configINS0_14default_configEtEEtPtS6_NS0_8identityItEEEEvT1_mT2_T3_: ; @_ZN7rocprim17ROCPRIM_304000_NS6detail16transform_kernelINS1_24wrapped_transform_configINS0_14default_configEtEEtPtS6_NS0_8identityItEEEEvT1_mT2_T3_
; %bb.0:
	s_load_dword s3, s[0:1], 0x20
	s_load_dwordx4 s[4:7], s[0:1], 0x0
	s_load_dwordx2 s[8:9], s[0:1], 0x10
	s_lshl_b32 s0, s2, 9
	s_mov_b32 s1, 0
	s_waitcnt lgkmcnt(0)
	s_add_i32 s3, s3, -1
	s_lshl_b64 s[10:11], s[0:1], 1
	s_add_u32 s4, s4, s10
	s_addc_u32 s5, s5, s11
	v_mov_b32_e32 v3, 0
	v_lshlrev_b32_e32 v2, 1, v0
	s_cmp_lg_u32 s2, s3
	v_lshl_add_u64 v[6:7], s[4:5], 0, v[2:3]
	s_cbranch_scc0 .LBB5_2
; %bb.1:
	global_load_ushort v3, v[6:7], off
	global_load_ushort v4, v[6:7], off offset:256
	global_load_ushort v5, v[6:7], off offset:512
	;; [unrolled: 1-line block ×3, first 2 shown]
	s_add_u32 s4, s8, s10
	s_addc_u32 s5, s9, s11
	s_mov_b64 s[12:13], -1
	s_waitcnt vmcnt(3)
	global_store_short v2, v3, s[4:5]
	s_waitcnt vmcnt(3)
	global_store_short v2, v4, s[4:5] offset:256
	s_waitcnt vmcnt(3)
	global_store_short v2, v5, s[4:5] offset:512
	s_cbranch_execz .LBB5_3
	s_branch .LBB5_17
.LBB5_2:
	s_mov_b64 s[12:13], 0
                                        ; implicit-def: $vgpr1
.LBB5_3:
	s_sub_i32 s6, s6, s0
	v_mov_b32_e32 v4, 0
	v_cmp_gt_u32_e32 vcc, s6, v0
	v_mov_b32_e32 v5, v4
	s_and_saveexec_b64 s[0:1], vcc
	s_cbranch_execz .LBB5_5
; %bb.4:
	global_load_ushort v1, v[6:7], off
	v_mov_b32_e32 v9, v4
	s_waitcnt vmcnt(0)
	v_and_b32_e32 v8, 0xffff, v1
	v_mov_b64_e32 v[4:5], v[8:9]
.LBB5_5:
	s_or_b64 exec, exec, s[0:1]
	s_waitcnt vmcnt(3)
	v_or_b32_e32 v1, 0x80, v0
	v_cmp_gt_u32_e64 s[0:1], s6, v1
	s_and_saveexec_b64 s[2:3], s[0:1]
	s_cbranch_execz .LBB5_7
; %bb.6:
	global_load_ushort v1, v[6:7], off offset:256
	s_mov_b32 s4, 0x5040100
	s_waitcnt vmcnt(0)
	v_perm_b32 v4, v1, v4, s4
.LBB5_7:
	s_or_b64 exec, exec, s[2:3]
	v_or_b32_e32 v1, 0x100, v0
	v_cmp_gt_u32_e64 s[2:3], s6, v1
	s_and_saveexec_b64 s[4:5], s[2:3]
	s_cbranch_execz .LBB5_9
; %bb.8:
	global_load_ushort v1, v[6:7], off offset:512
	s_mov_b32 s7, 0xffff
	s_waitcnt vmcnt(0)
	v_bfi_b32 v5, s7, v1, v5
.LBB5_9:
	s_or_b64 exec, exec, s[4:5]
	v_or_b32_e32 v0, 0x180, v0
	v_cmp_gt_u32_e64 s[4:5], s6, v0
	s_and_saveexec_b64 s[6:7], s[4:5]
	s_cbranch_execz .LBB5_11
; %bb.10:
	global_load_ushort v0, v[6:7], off offset:768
	s_mov_b32 s14, 0x5040100
	s_waitcnt vmcnt(0)
	v_perm_b32 v5, v0, v5, s14
.LBB5_11:
	s_or_b64 exec, exec, s[6:7]
	s_add_u32 s6, s8, s10
	v_mov_b32_e32 v3, 0
	s_addc_u32 s7, s9, s11
	v_cndmask_b32_sdwa v6, v3, v4, vcc dst_sel:DWORD dst_unused:UNUSED_PAD src0_sel:DWORD src1_sel:WORD_0
	v_lshl_add_u64 v[0:1], s[6:7], 0, v[2:3]
	s_and_saveexec_b64 s[6:7], vcc
	s_cbranch_execnz .LBB5_20
; %bb.12:
	s_or_b64 exec, exec, s[6:7]
	v_cndmask_b32_e64 v3, v6, v4, s[0:1]
	s_and_saveexec_b64 s[6:7], s[0:1]
	s_cbranch_execnz .LBB5_21
.LBB5_13:
	s_or_b64 exec, exec, s[6:7]
	s_and_saveexec_b64 s[0:1], s[2:3]
	s_cbranch_execnz .LBB5_22
.LBB5_14:
	s_or_b64 exec, exec, s[0:1]
                                        ; implicit-def: $vgpr1
	s_and_saveexec_b64 s[0:1], s[4:5]
.LBB5_15:
	v_cndmask_b32_e64 v0, 0, v5, s[4:5]
	v_lshrrev_b32_e32 v1, 16, v0
	s_or_b64 s[12:13], s[12:13], exec
.LBB5_16:
	s_or_b64 exec, exec, s[0:1]
.LBB5_17:
	s_and_saveexec_b64 s[0:1], s[12:13]
	s_cbranch_execnz .LBB5_19
; %bb.18:
	s_endpgm
.LBB5_19:
	s_add_u32 s0, s8, s10
	s_addc_u32 s1, s9, s11
	s_waitcnt vmcnt(3)
	global_store_short v2, v1, s[0:1] offset:768
	s_endpgm
.LBB5_20:
	global_store_short v[0:1], v6, off
	s_or_b64 exec, exec, s[6:7]
	v_cndmask_b32_e64 v3, v6, v4, s[0:1]
	s_and_saveexec_b64 s[6:7], s[0:1]
	s_cbranch_execz .LBB5_13
.LBB5_21:
	global_store_short_d16_hi v[0:1], v3, off offset:256
	s_or_b64 exec, exec, s[6:7]
	s_and_saveexec_b64 s[0:1], s[2:3]
	s_cbranch_execz .LBB5_14
.LBB5_22:
	v_cndmask_b32_e64 v3, 0, v5, s[2:3]
	global_store_short v[0:1], v3, off offset:512
	s_or_b64 exec, exec, s[0:1]
                                        ; implicit-def: $vgpr1
	s_and_saveexec_b64 s[0:1], s[4:5]
	s_cbranch_execnz .LBB5_15
	s_branch .LBB5_16
	.section	.rodata,"a",@progbits
	.p2align	6, 0x0
	.amdhsa_kernel _ZN7rocprim17ROCPRIM_304000_NS6detail16transform_kernelINS1_24wrapped_transform_configINS0_14default_configEtEEtPtS6_NS0_8identityItEEEEvT1_mT2_T3_
		.amdhsa_group_segment_fixed_size 0
		.amdhsa_private_segment_fixed_size 0
		.amdhsa_kernarg_size 288
		.amdhsa_user_sgpr_count 2
		.amdhsa_user_sgpr_dispatch_ptr 0
		.amdhsa_user_sgpr_queue_ptr 0
		.amdhsa_user_sgpr_kernarg_segment_ptr 1
		.amdhsa_user_sgpr_dispatch_id 0
		.amdhsa_user_sgpr_kernarg_preload_length 0
		.amdhsa_user_sgpr_kernarg_preload_offset 0
		.amdhsa_user_sgpr_private_segment_size 0
		.amdhsa_uses_dynamic_stack 0
		.amdhsa_enable_private_segment 0
		.amdhsa_system_sgpr_workgroup_id_x 1
		.amdhsa_system_sgpr_workgroup_id_y 0
		.amdhsa_system_sgpr_workgroup_id_z 0
		.amdhsa_system_sgpr_workgroup_info 0
		.amdhsa_system_vgpr_workitem_id 0
		.amdhsa_next_free_vgpr 10
		.amdhsa_next_free_sgpr 15
		.amdhsa_accum_offset 12
		.amdhsa_reserve_vcc 1
		.amdhsa_float_round_mode_32 0
		.amdhsa_float_round_mode_16_64 0
		.amdhsa_float_denorm_mode_32 3
		.amdhsa_float_denorm_mode_16_64 3
		.amdhsa_dx10_clamp 1
		.amdhsa_ieee_mode 1
		.amdhsa_fp16_overflow 0
		.amdhsa_tg_split 0
		.amdhsa_exception_fp_ieee_invalid_op 0
		.amdhsa_exception_fp_denorm_src 0
		.amdhsa_exception_fp_ieee_div_zero 0
		.amdhsa_exception_fp_ieee_overflow 0
		.amdhsa_exception_fp_ieee_underflow 0
		.amdhsa_exception_fp_ieee_inexact 0
		.amdhsa_exception_int_div_zero 0
	.end_amdhsa_kernel
	.section	.text._ZN7rocprim17ROCPRIM_304000_NS6detail16transform_kernelINS1_24wrapped_transform_configINS0_14default_configEtEEtPtS6_NS0_8identityItEEEEvT1_mT2_T3_,"axG",@progbits,_ZN7rocprim17ROCPRIM_304000_NS6detail16transform_kernelINS1_24wrapped_transform_configINS0_14default_configEtEEtPtS6_NS0_8identityItEEEEvT1_mT2_T3_,comdat
.Lfunc_end5:
	.size	_ZN7rocprim17ROCPRIM_304000_NS6detail16transform_kernelINS1_24wrapped_transform_configINS0_14default_configEtEEtPtS6_NS0_8identityItEEEEvT1_mT2_T3_, .Lfunc_end5-_ZN7rocprim17ROCPRIM_304000_NS6detail16transform_kernelINS1_24wrapped_transform_configINS0_14default_configEtEEtPtS6_NS0_8identityItEEEEvT1_mT2_T3_
                                        ; -- End function
	.set _ZN7rocprim17ROCPRIM_304000_NS6detail16transform_kernelINS1_24wrapped_transform_configINS0_14default_configEtEEtPtS6_NS0_8identityItEEEEvT1_mT2_T3_.num_vgpr, 10
	.set _ZN7rocprim17ROCPRIM_304000_NS6detail16transform_kernelINS1_24wrapped_transform_configINS0_14default_configEtEEtPtS6_NS0_8identityItEEEEvT1_mT2_T3_.num_agpr, 0
	.set _ZN7rocprim17ROCPRIM_304000_NS6detail16transform_kernelINS1_24wrapped_transform_configINS0_14default_configEtEEtPtS6_NS0_8identityItEEEEvT1_mT2_T3_.numbered_sgpr, 15
	.set _ZN7rocprim17ROCPRIM_304000_NS6detail16transform_kernelINS1_24wrapped_transform_configINS0_14default_configEtEEtPtS6_NS0_8identityItEEEEvT1_mT2_T3_.num_named_barrier, 0
	.set _ZN7rocprim17ROCPRIM_304000_NS6detail16transform_kernelINS1_24wrapped_transform_configINS0_14default_configEtEEtPtS6_NS0_8identityItEEEEvT1_mT2_T3_.private_seg_size, 0
	.set _ZN7rocprim17ROCPRIM_304000_NS6detail16transform_kernelINS1_24wrapped_transform_configINS0_14default_configEtEEtPtS6_NS0_8identityItEEEEvT1_mT2_T3_.uses_vcc, 1
	.set _ZN7rocprim17ROCPRIM_304000_NS6detail16transform_kernelINS1_24wrapped_transform_configINS0_14default_configEtEEtPtS6_NS0_8identityItEEEEvT1_mT2_T3_.uses_flat_scratch, 0
	.set _ZN7rocprim17ROCPRIM_304000_NS6detail16transform_kernelINS1_24wrapped_transform_configINS0_14default_configEtEEtPtS6_NS0_8identityItEEEEvT1_mT2_T3_.has_dyn_sized_stack, 0
	.set _ZN7rocprim17ROCPRIM_304000_NS6detail16transform_kernelINS1_24wrapped_transform_configINS0_14default_configEtEEtPtS6_NS0_8identityItEEEEvT1_mT2_T3_.has_recursion, 0
	.set _ZN7rocprim17ROCPRIM_304000_NS6detail16transform_kernelINS1_24wrapped_transform_configINS0_14default_configEtEEtPtS6_NS0_8identityItEEEEvT1_mT2_T3_.has_indirect_call, 0
	.section	.AMDGPU.csdata,"",@progbits
; Kernel info:
; codeLenInByte = 608
; TotalNumSgprs: 21
; NumVgprs: 10
; NumAgprs: 0
; TotalNumVgprs: 10
; ScratchSize: 0
; MemoryBound: 0
; FloatMode: 240
; IeeeMode: 1
; LDSByteSize: 0 bytes/workgroup (compile time only)
; SGPRBlocks: 2
; VGPRBlocks: 1
; NumSGPRsForWavesPerEU: 21
; NumVGPRsForWavesPerEU: 10
; AccumOffset: 12
; Occupancy: 8
; WaveLimiterHint : 1
; COMPUTE_PGM_RSRC2:SCRATCH_EN: 0
; COMPUTE_PGM_RSRC2:USER_SGPR: 2
; COMPUTE_PGM_RSRC2:TRAP_HANDLER: 0
; COMPUTE_PGM_RSRC2:TGID_X_EN: 1
; COMPUTE_PGM_RSRC2:TGID_Y_EN: 0
; COMPUTE_PGM_RSRC2:TGID_Z_EN: 0
; COMPUTE_PGM_RSRC2:TIDIG_COMP_CNT: 0
; COMPUTE_PGM_RSRC3_GFX90A:ACCUM_OFFSET: 2
; COMPUTE_PGM_RSRC3_GFX90A:TG_SPLIT: 0
	.section	.text._ZN7rocprim17ROCPRIM_304000_NS6detail16transform_kernelINS1_24wrapped_transform_configINS0_14default_configEN2at4cuda3cub6detail10OpaqueTypeILi8EEEEESA_PSA_SC_NS0_8identityISA_EEEEvT1_mT2_T3_,"axG",@progbits,_ZN7rocprim17ROCPRIM_304000_NS6detail16transform_kernelINS1_24wrapped_transform_configINS0_14default_configEN2at4cuda3cub6detail10OpaqueTypeILi8EEEEESA_PSA_SC_NS0_8identityISA_EEEEvT1_mT2_T3_,comdat
	.protected	_ZN7rocprim17ROCPRIM_304000_NS6detail16transform_kernelINS1_24wrapped_transform_configINS0_14default_configEN2at4cuda3cub6detail10OpaqueTypeILi8EEEEESA_PSA_SC_NS0_8identityISA_EEEEvT1_mT2_T3_ ; -- Begin function _ZN7rocprim17ROCPRIM_304000_NS6detail16transform_kernelINS1_24wrapped_transform_configINS0_14default_configEN2at4cuda3cub6detail10OpaqueTypeILi8EEEEESA_PSA_SC_NS0_8identityISA_EEEEvT1_mT2_T3_
	.globl	_ZN7rocprim17ROCPRIM_304000_NS6detail16transform_kernelINS1_24wrapped_transform_configINS0_14default_configEN2at4cuda3cub6detail10OpaqueTypeILi8EEEEESA_PSA_SC_NS0_8identityISA_EEEEvT1_mT2_T3_
	.p2align	8
	.type	_ZN7rocprim17ROCPRIM_304000_NS6detail16transform_kernelINS1_24wrapped_transform_configINS0_14default_configEN2at4cuda3cub6detail10OpaqueTypeILi8EEEEESA_PSA_SC_NS0_8identityISA_EEEEvT1_mT2_T3_,@function
_ZN7rocprim17ROCPRIM_304000_NS6detail16transform_kernelINS1_24wrapped_transform_configINS0_14default_configEN2at4cuda3cub6detail10OpaqueTypeILi8EEEEESA_PSA_SC_NS0_8identityISA_EEEEvT1_mT2_T3_: ; @_ZN7rocprim17ROCPRIM_304000_NS6detail16transform_kernelINS1_24wrapped_transform_configINS0_14default_configEN2at4cuda3cub6detail10OpaqueTypeILi8EEEEESA_PSA_SC_NS0_8identityISA_EEEEvT1_mT2_T3_
; %bb.0:
	s_load_dword s3, s[0:1], 0x20
	s_load_dwordx4 s[4:7], s[0:1], 0x0
	s_lshl_b32 s8, s2, 7
	s_waitcnt lgkmcnt(0)
	s_add_i32 s3, s3, -1
	s_cmp_lg_u32 s2, s3
	s_cselect_b64 s[2:3], -1, 0
	s_sub_i32 s6, s6, s8
	v_cmp_gt_u32_e32 vcc, s6, v0
	s_or_b64 s[2:3], vcc, s[2:3]
	s_and_saveexec_b64 s[6:7], s[2:3]
	s_cbranch_execz .LBB6_2
; %bb.1:
	s_load_dwordx2 s[0:1], s[0:1], 0x10
	s_mov_b32 s9, 0
	s_lshl_b64 s[2:3], s[8:9], 3
	v_lshlrev_b32_e32 v2, 3, v0
	s_waitcnt lgkmcnt(0)
	s_add_u32 s0, s0, s2
	s_addc_u32 s1, s1, s3
	s_add_u32 s2, s4, s2
	s_addc_u32 s3, s5, s3
	global_load_dwordx2 v[0:1], v2, s[2:3]
	s_waitcnt vmcnt(0)
	global_store_dwordx2 v2, v[0:1], s[0:1]
.LBB6_2:
	s_endpgm
	.section	.rodata,"a",@progbits
	.p2align	6, 0x0
	.amdhsa_kernel _ZN7rocprim17ROCPRIM_304000_NS6detail16transform_kernelINS1_24wrapped_transform_configINS0_14default_configEN2at4cuda3cub6detail10OpaqueTypeILi8EEEEESA_PSA_SC_NS0_8identityISA_EEEEvT1_mT2_T3_
		.amdhsa_group_segment_fixed_size 0
		.amdhsa_private_segment_fixed_size 0
		.amdhsa_kernarg_size 288
		.amdhsa_user_sgpr_count 2
		.amdhsa_user_sgpr_dispatch_ptr 0
		.amdhsa_user_sgpr_queue_ptr 0
		.amdhsa_user_sgpr_kernarg_segment_ptr 1
		.amdhsa_user_sgpr_dispatch_id 0
		.amdhsa_user_sgpr_kernarg_preload_length 0
		.amdhsa_user_sgpr_kernarg_preload_offset 0
		.amdhsa_user_sgpr_private_segment_size 0
		.amdhsa_uses_dynamic_stack 0
		.amdhsa_enable_private_segment 0
		.amdhsa_system_sgpr_workgroup_id_x 1
		.amdhsa_system_sgpr_workgroup_id_y 0
		.amdhsa_system_sgpr_workgroup_id_z 0
		.amdhsa_system_sgpr_workgroup_info 0
		.amdhsa_system_vgpr_workitem_id 0
		.amdhsa_next_free_vgpr 3
		.amdhsa_next_free_sgpr 10
		.amdhsa_accum_offset 4
		.amdhsa_reserve_vcc 1
		.amdhsa_float_round_mode_32 0
		.amdhsa_float_round_mode_16_64 0
		.amdhsa_float_denorm_mode_32 3
		.amdhsa_float_denorm_mode_16_64 3
		.amdhsa_dx10_clamp 1
		.amdhsa_ieee_mode 1
		.amdhsa_fp16_overflow 0
		.amdhsa_tg_split 0
		.amdhsa_exception_fp_ieee_invalid_op 0
		.amdhsa_exception_fp_denorm_src 0
		.amdhsa_exception_fp_ieee_div_zero 0
		.amdhsa_exception_fp_ieee_overflow 0
		.amdhsa_exception_fp_ieee_underflow 0
		.amdhsa_exception_fp_ieee_inexact 0
		.amdhsa_exception_int_div_zero 0
	.end_amdhsa_kernel
	.section	.text._ZN7rocprim17ROCPRIM_304000_NS6detail16transform_kernelINS1_24wrapped_transform_configINS0_14default_configEN2at4cuda3cub6detail10OpaqueTypeILi8EEEEESA_PSA_SC_NS0_8identityISA_EEEEvT1_mT2_T3_,"axG",@progbits,_ZN7rocprim17ROCPRIM_304000_NS6detail16transform_kernelINS1_24wrapped_transform_configINS0_14default_configEN2at4cuda3cub6detail10OpaqueTypeILi8EEEEESA_PSA_SC_NS0_8identityISA_EEEEvT1_mT2_T3_,comdat
.Lfunc_end6:
	.size	_ZN7rocprim17ROCPRIM_304000_NS6detail16transform_kernelINS1_24wrapped_transform_configINS0_14default_configEN2at4cuda3cub6detail10OpaqueTypeILi8EEEEESA_PSA_SC_NS0_8identityISA_EEEEvT1_mT2_T3_, .Lfunc_end6-_ZN7rocprim17ROCPRIM_304000_NS6detail16transform_kernelINS1_24wrapped_transform_configINS0_14default_configEN2at4cuda3cub6detail10OpaqueTypeILi8EEEEESA_PSA_SC_NS0_8identityISA_EEEEvT1_mT2_T3_
                                        ; -- End function
	.set _ZN7rocprim17ROCPRIM_304000_NS6detail16transform_kernelINS1_24wrapped_transform_configINS0_14default_configEN2at4cuda3cub6detail10OpaqueTypeILi8EEEEESA_PSA_SC_NS0_8identityISA_EEEEvT1_mT2_T3_.num_vgpr, 3
	.set _ZN7rocprim17ROCPRIM_304000_NS6detail16transform_kernelINS1_24wrapped_transform_configINS0_14default_configEN2at4cuda3cub6detail10OpaqueTypeILi8EEEEESA_PSA_SC_NS0_8identityISA_EEEEvT1_mT2_T3_.num_agpr, 0
	.set _ZN7rocprim17ROCPRIM_304000_NS6detail16transform_kernelINS1_24wrapped_transform_configINS0_14default_configEN2at4cuda3cub6detail10OpaqueTypeILi8EEEEESA_PSA_SC_NS0_8identityISA_EEEEvT1_mT2_T3_.numbered_sgpr, 10
	.set _ZN7rocprim17ROCPRIM_304000_NS6detail16transform_kernelINS1_24wrapped_transform_configINS0_14default_configEN2at4cuda3cub6detail10OpaqueTypeILi8EEEEESA_PSA_SC_NS0_8identityISA_EEEEvT1_mT2_T3_.num_named_barrier, 0
	.set _ZN7rocprim17ROCPRIM_304000_NS6detail16transform_kernelINS1_24wrapped_transform_configINS0_14default_configEN2at4cuda3cub6detail10OpaqueTypeILi8EEEEESA_PSA_SC_NS0_8identityISA_EEEEvT1_mT2_T3_.private_seg_size, 0
	.set _ZN7rocprim17ROCPRIM_304000_NS6detail16transform_kernelINS1_24wrapped_transform_configINS0_14default_configEN2at4cuda3cub6detail10OpaqueTypeILi8EEEEESA_PSA_SC_NS0_8identityISA_EEEEvT1_mT2_T3_.uses_vcc, 1
	.set _ZN7rocprim17ROCPRIM_304000_NS6detail16transform_kernelINS1_24wrapped_transform_configINS0_14default_configEN2at4cuda3cub6detail10OpaqueTypeILi8EEEEESA_PSA_SC_NS0_8identityISA_EEEEvT1_mT2_T3_.uses_flat_scratch, 0
	.set _ZN7rocprim17ROCPRIM_304000_NS6detail16transform_kernelINS1_24wrapped_transform_configINS0_14default_configEN2at4cuda3cub6detail10OpaqueTypeILi8EEEEESA_PSA_SC_NS0_8identityISA_EEEEvT1_mT2_T3_.has_dyn_sized_stack, 0
	.set _ZN7rocprim17ROCPRIM_304000_NS6detail16transform_kernelINS1_24wrapped_transform_configINS0_14default_configEN2at4cuda3cub6detail10OpaqueTypeILi8EEEEESA_PSA_SC_NS0_8identityISA_EEEEvT1_mT2_T3_.has_recursion, 0
	.set _ZN7rocprim17ROCPRIM_304000_NS6detail16transform_kernelINS1_24wrapped_transform_configINS0_14default_configEN2at4cuda3cub6detail10OpaqueTypeILi8EEEEESA_PSA_SC_NS0_8identityISA_EEEEvT1_mT2_T3_.has_indirect_call, 0
	.section	.AMDGPU.csdata,"",@progbits
; Kernel info:
; codeLenInByte = 120
; TotalNumSgprs: 16
; NumVgprs: 3
; NumAgprs: 0
; TotalNumVgprs: 3
; ScratchSize: 0
; MemoryBound: 0
; FloatMode: 240
; IeeeMode: 1
; LDSByteSize: 0 bytes/workgroup (compile time only)
; SGPRBlocks: 1
; VGPRBlocks: 0
; NumSGPRsForWavesPerEU: 16
; NumVGPRsForWavesPerEU: 3
; AccumOffset: 4
; Occupancy: 8
; WaveLimiterHint : 0
; COMPUTE_PGM_RSRC2:SCRATCH_EN: 0
; COMPUTE_PGM_RSRC2:USER_SGPR: 2
; COMPUTE_PGM_RSRC2:TRAP_HANDLER: 0
; COMPUTE_PGM_RSRC2:TGID_X_EN: 1
; COMPUTE_PGM_RSRC2:TGID_Y_EN: 0
; COMPUTE_PGM_RSRC2:TGID_Z_EN: 0
; COMPUTE_PGM_RSRC2:TIDIG_COMP_CNT: 0
; COMPUTE_PGM_RSRC3_GFX90A:ACCUM_OFFSET: 0
; COMPUTE_PGM_RSRC3_GFX90A:TG_SPLIT: 0
	.section	.text._ZN7rocprim17ROCPRIM_304000_NS6detail45device_block_merge_mergepath_partition_kernelINS1_37wrapped_merge_sort_block_merge_configINS0_14default_configEtN2at4cuda3cub6detail10OpaqueTypeILi8EEEEEPtjNS1_19radix_merge_compareILb1ELb1EtNS0_19identity_decomposerEEEEEvT0_T1_jPSH_T2_SH_,"axG",@progbits,_ZN7rocprim17ROCPRIM_304000_NS6detail45device_block_merge_mergepath_partition_kernelINS1_37wrapped_merge_sort_block_merge_configINS0_14default_configEtN2at4cuda3cub6detail10OpaqueTypeILi8EEEEEPtjNS1_19radix_merge_compareILb1ELb1EtNS0_19identity_decomposerEEEEEvT0_T1_jPSH_T2_SH_,comdat
	.protected	_ZN7rocprim17ROCPRIM_304000_NS6detail45device_block_merge_mergepath_partition_kernelINS1_37wrapped_merge_sort_block_merge_configINS0_14default_configEtN2at4cuda3cub6detail10OpaqueTypeILi8EEEEEPtjNS1_19radix_merge_compareILb1ELb1EtNS0_19identity_decomposerEEEEEvT0_T1_jPSH_T2_SH_ ; -- Begin function _ZN7rocprim17ROCPRIM_304000_NS6detail45device_block_merge_mergepath_partition_kernelINS1_37wrapped_merge_sort_block_merge_configINS0_14default_configEtN2at4cuda3cub6detail10OpaqueTypeILi8EEEEEPtjNS1_19radix_merge_compareILb1ELb1EtNS0_19identity_decomposerEEEEEvT0_T1_jPSH_T2_SH_
	.globl	_ZN7rocprim17ROCPRIM_304000_NS6detail45device_block_merge_mergepath_partition_kernelINS1_37wrapped_merge_sort_block_merge_configINS0_14default_configEtN2at4cuda3cub6detail10OpaqueTypeILi8EEEEEPtjNS1_19radix_merge_compareILb1ELb1EtNS0_19identity_decomposerEEEEEvT0_T1_jPSH_T2_SH_
	.p2align	8
	.type	_ZN7rocprim17ROCPRIM_304000_NS6detail45device_block_merge_mergepath_partition_kernelINS1_37wrapped_merge_sort_block_merge_configINS0_14default_configEtN2at4cuda3cub6detail10OpaqueTypeILi8EEEEEPtjNS1_19radix_merge_compareILb1ELb1EtNS0_19identity_decomposerEEEEEvT0_T1_jPSH_T2_SH_,@function
_ZN7rocprim17ROCPRIM_304000_NS6detail45device_block_merge_mergepath_partition_kernelINS1_37wrapped_merge_sort_block_merge_configINS0_14default_configEtN2at4cuda3cub6detail10OpaqueTypeILi8EEEEEPtjNS1_19radix_merge_compareILb1ELb1EtNS0_19identity_decomposerEEEEEvT0_T1_jPSH_T2_SH_: ; @_ZN7rocprim17ROCPRIM_304000_NS6detail45device_block_merge_mergepath_partition_kernelINS1_37wrapped_merge_sort_block_merge_configINS0_14default_configEtN2at4cuda3cub6detail10OpaqueTypeILi8EEEEEPtjNS1_19radix_merge_compareILb1ELb1EtNS0_19identity_decomposerEEEEEvT0_T1_jPSH_T2_SH_
; %bb.0:
	s_load_dwordx2 s[4:5], s[0:1], 0x8
	v_lshl_or_b32 v0, s2, 7, v0
	s_waitcnt lgkmcnt(0)
	v_cmp_gt_u32_e32 vcc, s5, v0
	s_and_saveexec_b64 s[2:3], vcc
	s_cbranch_execz .LBB7_6
; %bb.1:
	s_load_dwordx2 s[2:3], s[0:1], 0x18
	s_waitcnt lgkmcnt(0)
	s_lshr_b32 s5, s3, 9
	s_and_b32 s5, s5, 0x7ffffe
	s_add_i32 s6, s5, -1
	s_sub_i32 s5, 0, s5
	v_and_b32_e32 v1, s5, v0
	v_and_b32_e32 v2, s6, v0
	v_lshlrev_b32_e32 v1, 10, v1
	v_lshlrev_b32_e32 v3, 10, v2
	v_min_u32_e32 v2, s4, v1
	v_add_u32_e32 v1, s3, v1
	v_min_u32_e32 v4, s4, v1
	v_add_u32_e32 v1, s3, v4
	v_min_u32_e32 v1, s4, v1
	v_sub_u32_e32 v5, v1, v2
	v_min_u32_e32 v10, v5, v3
	v_sub_u32_e32 v3, v4, v2
	v_sub_u32_e32 v1, v1, v4
	v_sub_u32_e64 v1, v10, v1 clamp
	v_min_u32_e32 v11, v10, v3
	v_cmp_lt_u32_e32 vcc, v1, v11
	s_and_saveexec_b64 s[4:5], vcc
	s_cbranch_execz .LBB7_5
; %bb.2:
	s_load_dwordx2 s[6:7], s[0:1], 0x0
	v_mov_b32_e32 v5, 0
	v_mov_b32_e32 v3, v5
	s_waitcnt lgkmcnt(0)
	v_lshl_add_u64 v[6:7], v[2:3], 1, s[6:7]
	v_lshl_add_u64 v[8:9], v[4:5], 1, s[6:7]
	s_mov_b64 s[6:7], 0
.LBB7_3:                                ; =>This Inner Loop Header: Depth=1
	v_add_u32_e32 v3, v11, v1
	v_lshrrev_b32_e32 v16, 1, v3
	v_and_b32_e32 v4, -2, v3
	v_mov_b32_e32 v13, v5
	v_xad_u32 v12, v16, -1, v10
	v_lshl_add_u64 v[14:15], v[6:7], 0, v[4:5]
	v_lshl_add_u64 v[12:13], v[12:13], 1, v[8:9]
	global_load_ushort v3, v[14:15], off
	global_load_ushort v4, v[12:13], off
	v_add_u32_e32 v12, 1, v16
	s_waitcnt vmcnt(1)
	v_and_b32_e32 v3, s2, v3
	s_waitcnt vmcnt(0)
	v_and_b32_e32 v4, s2, v4
	v_cmp_gt_u16_e32 vcc, v4, v3
	s_nop 1
	v_cndmask_b32_e32 v11, v11, v16, vcc
	v_cndmask_b32_e32 v1, v12, v1, vcc
	v_cmp_ge_u32_e32 vcc, v1, v11
	s_or_b64 s[6:7], vcc, s[6:7]
	s_andn2_b64 exec, exec, s[6:7]
	s_cbranch_execnz .LBB7_3
; %bb.4:
	s_or_b64 exec, exec, s[6:7]
.LBB7_5:
	s_or_b64 exec, exec, s[4:5]
	s_load_dwordx2 s[0:1], s[0:1], 0x10
	v_add_u32_e32 v2, v1, v2
	v_mov_b32_e32 v1, 0
	s_waitcnt lgkmcnt(0)
	v_lshl_add_u64 v[0:1], v[0:1], 2, s[0:1]
	global_store_dword v[0:1], v2, off
.LBB7_6:
	s_endpgm
	.section	.rodata,"a",@progbits
	.p2align	6, 0x0
	.amdhsa_kernel _ZN7rocprim17ROCPRIM_304000_NS6detail45device_block_merge_mergepath_partition_kernelINS1_37wrapped_merge_sort_block_merge_configINS0_14default_configEtN2at4cuda3cub6detail10OpaqueTypeILi8EEEEEPtjNS1_19radix_merge_compareILb1ELb1EtNS0_19identity_decomposerEEEEEvT0_T1_jPSH_T2_SH_
		.amdhsa_group_segment_fixed_size 0
		.amdhsa_private_segment_fixed_size 0
		.amdhsa_kernarg_size 32
		.amdhsa_user_sgpr_count 2
		.amdhsa_user_sgpr_dispatch_ptr 0
		.amdhsa_user_sgpr_queue_ptr 0
		.amdhsa_user_sgpr_kernarg_segment_ptr 1
		.amdhsa_user_sgpr_dispatch_id 0
		.amdhsa_user_sgpr_kernarg_preload_length 0
		.amdhsa_user_sgpr_kernarg_preload_offset 0
		.amdhsa_user_sgpr_private_segment_size 0
		.amdhsa_uses_dynamic_stack 0
		.amdhsa_enable_private_segment 0
		.amdhsa_system_sgpr_workgroup_id_x 1
		.amdhsa_system_sgpr_workgroup_id_y 0
		.amdhsa_system_sgpr_workgroup_id_z 0
		.amdhsa_system_sgpr_workgroup_info 0
		.amdhsa_system_vgpr_workitem_id 0
		.amdhsa_next_free_vgpr 17
		.amdhsa_next_free_sgpr 8
		.amdhsa_accum_offset 20
		.amdhsa_reserve_vcc 1
		.amdhsa_float_round_mode_32 0
		.amdhsa_float_round_mode_16_64 0
		.amdhsa_float_denorm_mode_32 3
		.amdhsa_float_denorm_mode_16_64 3
		.amdhsa_dx10_clamp 1
		.amdhsa_ieee_mode 1
		.amdhsa_fp16_overflow 0
		.amdhsa_tg_split 0
		.amdhsa_exception_fp_ieee_invalid_op 0
		.amdhsa_exception_fp_denorm_src 0
		.amdhsa_exception_fp_ieee_div_zero 0
		.amdhsa_exception_fp_ieee_overflow 0
		.amdhsa_exception_fp_ieee_underflow 0
		.amdhsa_exception_fp_ieee_inexact 0
		.amdhsa_exception_int_div_zero 0
	.end_amdhsa_kernel
	.section	.text._ZN7rocprim17ROCPRIM_304000_NS6detail45device_block_merge_mergepath_partition_kernelINS1_37wrapped_merge_sort_block_merge_configINS0_14default_configEtN2at4cuda3cub6detail10OpaqueTypeILi8EEEEEPtjNS1_19radix_merge_compareILb1ELb1EtNS0_19identity_decomposerEEEEEvT0_T1_jPSH_T2_SH_,"axG",@progbits,_ZN7rocprim17ROCPRIM_304000_NS6detail45device_block_merge_mergepath_partition_kernelINS1_37wrapped_merge_sort_block_merge_configINS0_14default_configEtN2at4cuda3cub6detail10OpaqueTypeILi8EEEEEPtjNS1_19radix_merge_compareILb1ELb1EtNS0_19identity_decomposerEEEEEvT0_T1_jPSH_T2_SH_,comdat
.Lfunc_end7:
	.size	_ZN7rocprim17ROCPRIM_304000_NS6detail45device_block_merge_mergepath_partition_kernelINS1_37wrapped_merge_sort_block_merge_configINS0_14default_configEtN2at4cuda3cub6detail10OpaqueTypeILi8EEEEEPtjNS1_19radix_merge_compareILb1ELb1EtNS0_19identity_decomposerEEEEEvT0_T1_jPSH_T2_SH_, .Lfunc_end7-_ZN7rocprim17ROCPRIM_304000_NS6detail45device_block_merge_mergepath_partition_kernelINS1_37wrapped_merge_sort_block_merge_configINS0_14default_configEtN2at4cuda3cub6detail10OpaqueTypeILi8EEEEEPtjNS1_19radix_merge_compareILb1ELb1EtNS0_19identity_decomposerEEEEEvT0_T1_jPSH_T2_SH_
                                        ; -- End function
	.set _ZN7rocprim17ROCPRIM_304000_NS6detail45device_block_merge_mergepath_partition_kernelINS1_37wrapped_merge_sort_block_merge_configINS0_14default_configEtN2at4cuda3cub6detail10OpaqueTypeILi8EEEEEPtjNS1_19radix_merge_compareILb1ELb1EtNS0_19identity_decomposerEEEEEvT0_T1_jPSH_T2_SH_.num_vgpr, 17
	.set _ZN7rocprim17ROCPRIM_304000_NS6detail45device_block_merge_mergepath_partition_kernelINS1_37wrapped_merge_sort_block_merge_configINS0_14default_configEtN2at4cuda3cub6detail10OpaqueTypeILi8EEEEEPtjNS1_19radix_merge_compareILb1ELb1EtNS0_19identity_decomposerEEEEEvT0_T1_jPSH_T2_SH_.num_agpr, 0
	.set _ZN7rocprim17ROCPRIM_304000_NS6detail45device_block_merge_mergepath_partition_kernelINS1_37wrapped_merge_sort_block_merge_configINS0_14default_configEtN2at4cuda3cub6detail10OpaqueTypeILi8EEEEEPtjNS1_19radix_merge_compareILb1ELb1EtNS0_19identity_decomposerEEEEEvT0_T1_jPSH_T2_SH_.numbered_sgpr, 8
	.set _ZN7rocprim17ROCPRIM_304000_NS6detail45device_block_merge_mergepath_partition_kernelINS1_37wrapped_merge_sort_block_merge_configINS0_14default_configEtN2at4cuda3cub6detail10OpaqueTypeILi8EEEEEPtjNS1_19radix_merge_compareILb1ELb1EtNS0_19identity_decomposerEEEEEvT0_T1_jPSH_T2_SH_.num_named_barrier, 0
	.set _ZN7rocprim17ROCPRIM_304000_NS6detail45device_block_merge_mergepath_partition_kernelINS1_37wrapped_merge_sort_block_merge_configINS0_14default_configEtN2at4cuda3cub6detail10OpaqueTypeILi8EEEEEPtjNS1_19radix_merge_compareILb1ELb1EtNS0_19identity_decomposerEEEEEvT0_T1_jPSH_T2_SH_.private_seg_size, 0
	.set _ZN7rocprim17ROCPRIM_304000_NS6detail45device_block_merge_mergepath_partition_kernelINS1_37wrapped_merge_sort_block_merge_configINS0_14default_configEtN2at4cuda3cub6detail10OpaqueTypeILi8EEEEEPtjNS1_19radix_merge_compareILb1ELb1EtNS0_19identity_decomposerEEEEEvT0_T1_jPSH_T2_SH_.uses_vcc, 1
	.set _ZN7rocprim17ROCPRIM_304000_NS6detail45device_block_merge_mergepath_partition_kernelINS1_37wrapped_merge_sort_block_merge_configINS0_14default_configEtN2at4cuda3cub6detail10OpaqueTypeILi8EEEEEPtjNS1_19radix_merge_compareILb1ELb1EtNS0_19identity_decomposerEEEEEvT0_T1_jPSH_T2_SH_.uses_flat_scratch, 0
	.set _ZN7rocprim17ROCPRIM_304000_NS6detail45device_block_merge_mergepath_partition_kernelINS1_37wrapped_merge_sort_block_merge_configINS0_14default_configEtN2at4cuda3cub6detail10OpaqueTypeILi8EEEEEPtjNS1_19radix_merge_compareILb1ELb1EtNS0_19identity_decomposerEEEEEvT0_T1_jPSH_T2_SH_.has_dyn_sized_stack, 0
	.set _ZN7rocprim17ROCPRIM_304000_NS6detail45device_block_merge_mergepath_partition_kernelINS1_37wrapped_merge_sort_block_merge_configINS0_14default_configEtN2at4cuda3cub6detail10OpaqueTypeILi8EEEEEPtjNS1_19radix_merge_compareILb1ELb1EtNS0_19identity_decomposerEEEEEvT0_T1_jPSH_T2_SH_.has_recursion, 0
	.set _ZN7rocprim17ROCPRIM_304000_NS6detail45device_block_merge_mergepath_partition_kernelINS1_37wrapped_merge_sort_block_merge_configINS0_14default_configEtN2at4cuda3cub6detail10OpaqueTypeILi8EEEEEPtjNS1_19radix_merge_compareILb1ELb1EtNS0_19identity_decomposerEEEEEvT0_T1_jPSH_T2_SH_.has_indirect_call, 0
	.section	.AMDGPU.csdata,"",@progbits
; Kernel info:
; codeLenInByte = 336
; TotalNumSgprs: 14
; NumVgprs: 17
; NumAgprs: 0
; TotalNumVgprs: 17
; ScratchSize: 0
; MemoryBound: 0
; FloatMode: 240
; IeeeMode: 1
; LDSByteSize: 0 bytes/workgroup (compile time only)
; SGPRBlocks: 1
; VGPRBlocks: 2
; NumSGPRsForWavesPerEU: 14
; NumVGPRsForWavesPerEU: 17
; AccumOffset: 20
; Occupancy: 8
; WaveLimiterHint : 0
; COMPUTE_PGM_RSRC2:SCRATCH_EN: 0
; COMPUTE_PGM_RSRC2:USER_SGPR: 2
; COMPUTE_PGM_RSRC2:TRAP_HANDLER: 0
; COMPUTE_PGM_RSRC2:TGID_X_EN: 1
; COMPUTE_PGM_RSRC2:TGID_Y_EN: 0
; COMPUTE_PGM_RSRC2:TGID_Z_EN: 0
; COMPUTE_PGM_RSRC2:TIDIG_COMP_CNT: 0
; COMPUTE_PGM_RSRC3_GFX90A:ACCUM_OFFSET: 4
; COMPUTE_PGM_RSRC3_GFX90A:TG_SPLIT: 0
	.section	.text._ZN7rocprim17ROCPRIM_304000_NS6detail35device_block_merge_mergepath_kernelINS1_37wrapped_merge_sort_block_merge_configINS0_14default_configEtN2at4cuda3cub6detail10OpaqueTypeILi8EEEEEPtSC_PSA_SD_jNS1_19radix_merge_compareILb1ELb1EtNS0_19identity_decomposerEEEEEvT0_T1_T2_T3_T4_SL_jT5_PKSL_NS1_7vsmem_tE,"axG",@progbits,_ZN7rocprim17ROCPRIM_304000_NS6detail35device_block_merge_mergepath_kernelINS1_37wrapped_merge_sort_block_merge_configINS0_14default_configEtN2at4cuda3cub6detail10OpaqueTypeILi8EEEEEPtSC_PSA_SD_jNS1_19radix_merge_compareILb1ELb1EtNS0_19identity_decomposerEEEEEvT0_T1_T2_T3_T4_SL_jT5_PKSL_NS1_7vsmem_tE,comdat
	.protected	_ZN7rocprim17ROCPRIM_304000_NS6detail35device_block_merge_mergepath_kernelINS1_37wrapped_merge_sort_block_merge_configINS0_14default_configEtN2at4cuda3cub6detail10OpaqueTypeILi8EEEEEPtSC_PSA_SD_jNS1_19radix_merge_compareILb1ELb1EtNS0_19identity_decomposerEEEEEvT0_T1_T2_T3_T4_SL_jT5_PKSL_NS1_7vsmem_tE ; -- Begin function _ZN7rocprim17ROCPRIM_304000_NS6detail35device_block_merge_mergepath_kernelINS1_37wrapped_merge_sort_block_merge_configINS0_14default_configEtN2at4cuda3cub6detail10OpaqueTypeILi8EEEEEPtSC_PSA_SD_jNS1_19radix_merge_compareILb1ELb1EtNS0_19identity_decomposerEEEEEvT0_T1_T2_T3_T4_SL_jT5_PKSL_NS1_7vsmem_tE
	.globl	_ZN7rocprim17ROCPRIM_304000_NS6detail35device_block_merge_mergepath_kernelINS1_37wrapped_merge_sort_block_merge_configINS0_14default_configEtN2at4cuda3cub6detail10OpaqueTypeILi8EEEEEPtSC_PSA_SD_jNS1_19radix_merge_compareILb1ELb1EtNS0_19identity_decomposerEEEEEvT0_T1_T2_T3_T4_SL_jT5_PKSL_NS1_7vsmem_tE
	.p2align	8
	.type	_ZN7rocprim17ROCPRIM_304000_NS6detail35device_block_merge_mergepath_kernelINS1_37wrapped_merge_sort_block_merge_configINS0_14default_configEtN2at4cuda3cub6detail10OpaqueTypeILi8EEEEEPtSC_PSA_SD_jNS1_19radix_merge_compareILb1ELb1EtNS0_19identity_decomposerEEEEEvT0_T1_T2_T3_T4_SL_jT5_PKSL_NS1_7vsmem_tE,@function
_ZN7rocprim17ROCPRIM_304000_NS6detail35device_block_merge_mergepath_kernelINS1_37wrapped_merge_sort_block_merge_configINS0_14default_configEtN2at4cuda3cub6detail10OpaqueTypeILi8EEEEEPtSC_PSA_SD_jNS1_19radix_merge_compareILb1ELb1EtNS0_19identity_decomposerEEEEEvT0_T1_T2_T3_T4_SL_jT5_PKSL_NS1_7vsmem_tE: ; @_ZN7rocprim17ROCPRIM_304000_NS6detail35device_block_merge_mergepath_kernelINS1_37wrapped_merge_sort_block_merge_configINS0_14default_configEtN2at4cuda3cub6detail10OpaqueTypeILi8EEEEEPtSC_PSA_SD_jNS1_19radix_merge_compareILb1ELb1EtNS0_19identity_decomposerEEEEEvT0_T1_T2_T3_T4_SL_jT5_PKSL_NS1_7vsmem_tE
; %bb.0:
	s_load_dwordx2 s[26:27], s[0:1], 0x40
	s_load_dwordx4 s[12:15], s[0:1], 0x20
	s_add_u32 s24, s0, 64
	s_addc_u32 s25, s1, 0
	s_waitcnt lgkmcnt(0)
	s_mul_i32 s4, s27, s4
	s_add_i32 s3, s4, s3
	s_mul_i32 s3, s3, s26
	s_add_i32 s22, s3, s2
	s_cmp_ge_u32 s22, s14
	s_cbranch_scc1 .LBB8_51
; %bb.1:
	s_load_dwordx8 s[4:11], s[0:1], 0x0
	s_load_dwordx2 s[18:19], s[0:1], 0x30
	s_lshr_b32 s29, s12, 10
	s_cmp_lg_u32 s22, s29
	s_mov_b32 s23, 0
	s_cselect_b64 s[16:17], -1, 0
	s_lshl_b64 s[0:1], s[22:23], 2
	s_waitcnt lgkmcnt(0)
	s_add_u32 s0, s18, s0
	s_addc_u32 s1, s19, s1
	s_load_dwordx2 s[18:19], s[0:1], 0x0
	s_lshr_b32 s0, s13, 9
	s_and_b32 s0, s0, 0x7ffffe
	s_sub_i32 s0, 0, s0
	s_and_b32 s1, s22, s0
	s_lshl_b32 s3, s1, 10
	s_lshl_b32 s14, s22, 10
	;; [unrolled: 1-line block ×3, first 2 shown]
	s_sub_i32 s20, s14, s3
	s_add_i32 s1, s1, s13
	s_add_i32 s21, s1, s20
	s_waitcnt lgkmcnt(0)
	s_sub_i32 s20, s21, s18
	s_sub_i32 s21, s21, s19
	;; [unrolled: 1-line block ×3, first 2 shown]
	s_min_u32 s20, s12, s20
	s_addk_i32 s21, 0x400
	s_or_b32 s0, s22, s0
	s_min_u32 s3, s12, s1
	s_add_i32 s1, s1, s13
	s_cmp_eq_u32 s0, -1
	s_cselect_b32 s0, s1, s21
	s_cselect_b32 s1, s3, s19
	s_min_u32 s0, s0, s12
	s_mov_b32 s19, s23
	s_sub_i32 s27, s1, s18
	s_sub_i32 s28, s0, s20
	s_lshl_b64 s[0:1], s[18:19], 1
	s_add_u32 s0, s4, s0
	s_mov_b32 s21, s23
	s_addc_u32 s1, s5, s1
	s_lshl_b64 s[30:31], s[20:21], 1
	s_add_u32 s4, s4, s30
	s_addc_u32 s5, s5, s31
	s_cmp_lt_u32 s2, s26
	v_mov_b32_e32 v3, 0
	s_cselect_b32 s2, 12, 18
	global_load_dword v1, v3, s[24:25] offset:14
	s_add_u32 s2, s24, s2
	s_addc_u32 s3, s25, 0
	global_load_ushort v2, v3, s[2:3]
	v_cmp_gt_u32_e32 vcc, s27, v0
	s_cmp_eq_u32 s22, s29
	s_waitcnt vmcnt(1)
	v_lshrrev_b32_e32 v4, 16, v1
	v_and_b32_e32 v1, 0xffff, v1
	v_mul_lo_u32 v1, v1, v4
	s_waitcnt vmcnt(0)
	v_mul_lo_u32 v1, v1, v2
	v_lshlrev_b32_e32 v2, 1, v0
	v_add_u32_e32 v4, v1, v0
	s_cbranch_scc1 .LBB8_3
; %bb.2:
	v_subrev_u32_e32 v1, s27, v0
	v_lshlrev_b32_e32 v8, 1, v1
	v_mov_b32_e32 v9, v3
	v_lshl_add_u64 v[6:7], s[0:1], 0, v[2:3]
	v_lshl_add_u64 v[8:9], s[4:5], 0, v[8:9]
	v_cndmask_b32_e32 v7, v9, v7, vcc
	v_cndmask_b32_e32 v6, v8, v6, vcc
	v_mov_b32_e32 v5, v3
	v_subrev_co_u32_e32 v8, vcc, s27, v4
	v_mov_b32_e32 v9, v3
	global_load_ushort v1, v[6:7], off
	v_lshl_add_u64 v[6:7], v[4:5], 1, s[0:1]
	v_lshl_add_u64 v[8:9], v[8:9], 1, s[4:5]
	v_cndmask_b32_e32 v7, v9, v7, vcc
	v_cndmask_b32_e32 v6, v8, v6, vcc
	global_load_ushort v3, v[6:7], off
	s_mov_b32 s2, 0x5040100
	s_add_i32 s13, s28, s27
	s_waitcnt vmcnt(0)
	v_perm_b32 v1, v3, v1, s2
	s_cbranch_execz .LBB8_4
	s_branch .LBB8_9
.LBB8_3:
                                        ; implicit-def: $vgpr1
                                        ; implicit-def: $sgpr13
.LBB8_4:
	s_add_i32 s13, s28, s27
	v_cmp_gt_u32_e32 vcc, s13, v0
	v_mov_b32_e32 v1, 0
	s_and_saveexec_b64 s[2:3], vcc
	s_cbranch_execz .LBB8_6
; %bb.5:
	v_mov_b32_e32 v3, 0
	v_subrev_u32_e32 v1, s27, v0
	v_lshlrev_b32_e32 v8, 1, v1
	v_mov_b32_e32 v9, v3
	v_lshl_add_u64 v[6:7], s[0:1], 0, v[2:3]
	v_lshl_add_u64 v[8:9], s[4:5], 0, v[8:9]
	v_cmp_gt_u32_e32 vcc, s27, v0
	s_nop 1
	v_cndmask_b32_e32 v7, v9, v7, vcc
	v_cndmask_b32_e32 v6, v8, v6, vcc
	global_load_ushort v1, v[6:7], off
	s_waitcnt vmcnt(0)
	v_and_b32_e32 v1, 0xffff, v1
.LBB8_6:
	s_or_b64 exec, exec, s[2:3]
	v_cmp_gt_u32_e32 vcc, s13, v4
	s_and_saveexec_b64 s[2:3], vcc
	s_cbranch_execz .LBB8_8
; %bb.7:
	v_mov_b32_e32 v5, 0
	v_lshl_add_u64 v[6:7], v[4:5], 1, s[0:1]
	v_subrev_co_u32_e32 v4, vcc, s27, v4
	v_lshl_add_u64 v[4:5], v[4:5], 1, s[4:5]
	s_nop 0
	v_cndmask_b32_e32 v5, v5, v7, vcc
	v_cndmask_b32_e32 v4, v4, v6, vcc
	global_load_ushort v3, v[4:5], off
	s_mov_b32 s0, 0x5040100
	s_waitcnt vmcnt(0)
	v_perm_b32 v1, v3, v1, s0
.LBB8_8:
	s_or_b64 exec, exec, s[2:3]
.LBB8_9:
	v_min_u32_e32 v3, s13, v2
	v_sub_u32_e64 v4, v3, s28 clamp
	v_min_u32_e32 v5, s27, v3
	v_cmp_lt_u32_e32 vcc, v4, v5
	ds_write_b16 v2, v1
	ds_write_b16_d16_hi v2, v1 offset:1024
	s_waitcnt lgkmcnt(0)
	s_barrier
	s_and_saveexec_b64 s[0:1], vcc
	s_cbranch_execz .LBB8_13
; %bb.10:
	v_lshlrev_b32_e32 v6, 1, v3
	v_lshl_add_u32 v6, s27, 1, v6
	s_mov_b64 s[2:3], 0
.LBB8_11:                               ; =>This Inner Loop Header: Depth=1
	v_add_u32_e32 v7, v5, v4
	v_lshrrev_b32_e32 v8, 1, v7
	v_not_b32_e32 v9, v8
	v_and_b32_e32 v7, -2, v7
	v_lshl_add_u32 v9, v9, 1, v6
	ds_read_u16 v7, v7
	ds_read_u16 v9, v9
	v_add_u32_e32 v10, 1, v8
	s_waitcnt lgkmcnt(1)
	v_and_b32_e32 v7, s15, v7
	s_waitcnt lgkmcnt(0)
	v_and_b32_e32 v9, s15, v9
	v_cmp_gt_u16_e32 vcc, v9, v7
	s_nop 1
	v_cndmask_b32_e32 v5, v5, v8, vcc
	v_cndmask_b32_e32 v4, v10, v4, vcc
	v_cmp_ge_u32_e32 vcc, v4, v5
	s_or_b64 s[2:3], vcc, s[2:3]
	s_andn2_b64 exec, exec, s[2:3]
	s_cbranch_execnz .LBB8_11
; %bb.12:
	s_or_b64 exec, exec, s[2:3]
.LBB8_13:
	s_or_b64 exec, exec, s[0:1]
	v_sub_u32_e32 v3, v3, v4
	v_add_u32_e32 v5, s27, v3
	v_cmp_ge_u32_e32 vcc, s27, v4
	v_cmp_ge_u32_e64 s[0:1], s13, v5
	s_or_b64 s[0:1], vcc, s[0:1]
	v_mov_b32_e32 v3, 0
	v_mov_b32_e32 v8, 0
	s_and_saveexec_b64 s[4:5], s[0:1]
	s_cbranch_execz .LBB8_19
; %bb.14:
	v_cmp_gt_u32_e32 vcc, s27, v4
                                        ; implicit-def: $vgpr1
	s_and_saveexec_b64 s[0:1], vcc
; %bb.15:
	v_lshlrev_b32_e32 v1, 1, v4
	ds_read_u16 v1, v1
; %bb.16:
	s_or_b64 exec, exec, s[0:1]
	v_cmp_le_u32_e64 s[0:1], s13, v5
	v_cmp_gt_u32_e64 s[2:3], s13, v5
                                        ; implicit-def: $vgpr3
	s_and_saveexec_b64 s[22:23], s[2:3]
; %bb.17:
	v_lshlrev_b32_e32 v3, 1, v5
	ds_read_u16 v3, v3
; %bb.18:
	s_or_b64 exec, exec, s[22:23]
	s_waitcnt lgkmcnt(0)
	v_and_b32_e32 v6, s15, v3
	v_and_b32_e32 v7, s15, v1
	v_cmp_le_u16_e64 s[2:3], v6, v7
	s_and_b64 s[2:3], vcc, s[2:3]
	s_or_b64 vcc, s[0:1], s[2:3]
	v_mov_b32_e32 v6, s13
	v_mov_b32_e32 v7, s27
	v_cndmask_b32_e32 v8, v5, v4, vcc
	v_cndmask_b32_e32 v6, v6, v7, vcc
	v_add_u32_e32 v7, 1, v8
	v_add_u32_e32 v6, -1, v6
	v_min_u32_e32 v6, v7, v6
	v_lshlrev_b32_e32 v6, 1, v6
	ds_read_u16 v6, v6
	v_cndmask_b32_e32 v9, v3, v1, vcc
	v_cndmask_b32_e32 v4, v4, v7, vcc
	v_cmp_gt_u32_e64 s[0:1], s27, v4
	s_waitcnt lgkmcnt(0)
	v_cndmask_b32_e32 v10, v6, v3, vcc
	v_cndmask_b32_e32 v1, v1, v6, vcc
	;; [unrolled: 1-line block ×3, first 2 shown]
	v_and_b32_e32 v5, s15, v10
	v_and_b32_e32 v6, s15, v1
	v_cmp_le_u16_e64 s[2:3], v5, v6
	v_cmp_le_u32_e32 vcc, s13, v3
	s_and_b64 s[0:1], s[0:1], s[2:3]
	s_or_b64 vcc, vcc, s[0:1]
	v_cndmask_b32_e32 v1, v10, v1, vcc
	s_mov_b32 s0, 0x5040100
	v_cndmask_b32_e32 v3, v3, v4, vcc
	v_perm_b32 v1, v1, v9, s0
.LBB8_19:
	s_or_b64 exec, exec, s[4:5]
	s_lshl_b64 s[0:1], s[18:19], 3
	s_add_u32 s18, s8, s0
	s_addc_u32 s19, s9, s1
	s_lshl_b64 s[0:1], s[20:21], 3
	s_add_u32 s8, s8, s0
	v_cndmask_b32_e64 v4, 0, 1, s[16:17]
	v_mov_b32_e32 v5, 0
	s_addc_u32 s9, s9, s1
	v_cmp_gt_u32_e64 s[4:5], s27, v0
	v_cmp_ne_u32_e64 s[0:1], 1, v4
	s_andn2_b64 vcc, exec, s[16:17]
	v_cmp_le_u32_e64 s[2:3], s27, v0
	s_barrier
	s_cbranch_vccnz .LBB8_21
; %bb.20:
	v_lshlrev_b32_e32 v4, 3, v0
	v_lshl_add_u64 v[6:7], s[18:19], 0, v[4:5]
	v_subrev_u32_e32 v4, s27, v0
	v_lshlrev_b32_e32 v4, 3, v4
	v_lshl_add_u64 v[4:5], s[8:9], 0, v[4:5]
	v_cndmask_b32_e64 v5, v5, v7, s[4:5]
	v_cndmask_b32_e64 v4, v4, v6, s[4:5]
	global_load_dwordx2 v[10:11], v[4:5], off
	v_or_b32_e32 v9, 0x200, v0
	v_mov_b32_e32 v4, s9
	v_mov_b32_e32 v5, s19
	;; [unrolled: 1-line block ×4, first 2 shown]
	v_subrev_u32_e32 v6, s27, v9
	v_cmp_gt_u32_e32 vcc, s27, v9
	v_mad_u32_u24 v7, v0, 6, v2
	s_nop 0
	v_cndmask_b32_e32 v5, v4, v5, vcc
	v_min_u32_e32 v6, v9, v6
	v_cndmask_b32_e32 v4, v12, v13, vcc
	s_mov_b64 s[4:5], -1
	s_waitcnt vmcnt(0)
	ds_write_b64 v7, v[10:11]
	s_cbranch_execz .LBB8_22
	s_branch .LBB8_31
.LBB8_21:
	s_mov_b64 s[4:5], 0
                                        ; implicit-def: $vgpr9
                                        ; implicit-def: $vgpr4_vgpr5
                                        ; implicit-def: $vgpr6
.LBB8_22:
	s_and_saveexec_b64 s[4:5], s[2:3]
	s_xor_b64 s[2:3], exec, s[4:5]
	s_cbranch_execz .LBB8_26
; %bb.23:
	v_subrev_u32_e32 v4, s27, v0
	v_cmp_gt_u32_e32 vcc, s28, v4
	s_and_saveexec_b64 s[4:5], vcc
	s_cbranch_execz .LBB8_25
; %bb.24:
	v_lshlrev_b32_e32 v4, 3, v4
	global_load_dwordx2 v[4:5], v4, s[8:9]
	v_mad_u32_u24 v6, v0, 6, v2
	s_waitcnt vmcnt(0)
	ds_write_b64 v6, v[4:5]
.LBB8_25:
	s_or_b64 exec, exec, s[4:5]
.LBB8_26:
	s_andn2_saveexec_b64 s[2:3], s[2:3]
	s_cbranch_execz .LBB8_28
; %bb.27:
	v_lshlrev_b32_e32 v4, 3, v0
	global_load_dwordx2 v[4:5], v4, s[18:19]
	v_mad_u32_u24 v6, v0, 6, v2
	s_waitcnt vmcnt(0)
	ds_write_b64 v6, v[4:5]
.LBB8_28:
	s_or_b64 exec, exec, s[2:3]
	v_or_b32_e32 v9, 0x200, v0
	v_cmp_le_u32_e32 vcc, s27, v9
	s_mov_b64 s[4:5], -1
	v_mov_b64_e32 v[4:5], s[18:19]
	v_mov_b32_e32 v6, v9
	s_and_saveexec_b64 s[2:3], vcc
; %bb.29:
	v_subrev_u32_e32 v6, s27, v9
	v_cmp_gt_u32_e32 vcc, s28, v6
	v_mov_b64_e32 v[4:5], s[8:9]
	s_orn2_b64 s[4:5], vcc, exec
; %bb.30:
	s_or_b64 exec, exec, s[2:3]
.LBB8_31:
	s_and_saveexec_b64 s[2:3], s[4:5]
	s_cbranch_execz .LBB8_33
; %bb.32:
	v_mov_b32_e32 v7, 0
	v_lshl_add_u64 v[4:5], v[6:7], 3, v[4:5]
	global_load_dwordx2 v[4:5], v[4:5], off
	v_lshlrev_b32_e32 v6, 3, v9
	s_waitcnt vmcnt(0)
	ds_write_b64 v6, v[4:5]
.LBB8_33:
	s_or_b64 exec, exec, s[2:3]
	s_and_b64 vcc, exec, s[0:1]
	v_add_u32_e32 v4, s14, v2
	s_waitcnt lgkmcnt(0)
	s_barrier
	s_cbranch_vccnz .LBB8_35
; %bb.34:
	v_lshlrev_b32_e32 v5, 3, v8
	ds_read_b64 v[6:7], v5
	v_mov_b32_e32 v5, 0
	v_lshl_add_u64 v[10:11], v[4:5], 3, s[10:11]
	s_mov_b64 s[0:1], -1
	s_waitcnt lgkmcnt(0)
	global_store_dwordx2 v[10:11], v[6:7], off
	s_cbranch_execz .LBB8_36
	s_branch .LBB8_41
.LBB8_35:
	s_mov_b64 s[0:1], 0
.LBB8_36:
	v_cmp_gt_u32_e32 vcc, s13, v2
	s_and_saveexec_b64 s[2:3], vcc
	s_cbranch_execz .LBB8_38
; %bb.37:
	v_lshlrev_b32_e32 v5, 3, v8
	ds_read_b64 v[6:7], v5
	v_mov_b32_e32 v5, 0
	v_lshl_add_u64 v[8:9], v[4:5], 3, s[10:11]
	s_waitcnt lgkmcnt(0)
	global_store_dwordx2 v[8:9], v[6:7], off
.LBB8_38:
	s_or_b64 exec, exec, s[2:3]
	v_or_b32_e32 v5, 1, v2
	v_cmp_gt_u32_e32 vcc, s13, v5
	s_and_saveexec_b64 s[2:3], vcc
; %bb.39:
	v_mov_b32_e32 v5, 0
	s_or_b64 s[0:1], s[0:1], exec
; %bb.40:
	s_or_b64 exec, exec, s[2:3]
.LBB8_41:
	s_and_saveexec_b64 s[2:3], s[0:1]
	s_cbranch_execz .LBB8_43
; %bb.42:
	v_lshlrev_b32_e32 v3, 3, v3
	ds_read_b64 v[6:7], v3
	v_lshl_add_u64 v[4:5], v[4:5], 3, s[10:11]
	s_waitcnt lgkmcnt(0)
	global_store_dwordx2 v[4:5], v[6:7], off offset:8
.LBB8_43:
	s_or_b64 exec, exec, s[2:3]
	v_lshrrev_b32_e32 v4, 3, v0
	v_and_b32_e32 v4, 60, v4
	v_lshrrev_b32_e32 v3, 4, v0
	v_lshl_add_u32 v4, v2, 1, v4
	s_barrier
	s_barrier
	ds_write_b32 v4, v1
	v_and_b32_e32 v1, 28, v3
	s_mov_b32 s15, 0
	v_add_u32_e32 v4, v1, v2
	v_or_b32_e32 v1, 0x200, v0
	s_lshl_b64 s[0:1], s[14:15], 1
	v_lshrrev_b32_e32 v3, 4, v1
	s_add_u32 s0, s6, s0
	v_and_b32_e32 v3, 60, v3
	s_addc_u32 s1, s7, s1
	v_add_u32_e32 v6, v3, v2
	v_mov_b32_e32 v3, 0
	v_lshl_add_u64 v[2:3], s[0:1], 0, v[2:3]
	s_and_b64 vcc, exec, s[16:17]
	s_waitcnt lgkmcnt(0)
	s_cbranch_vccz .LBB8_45
; %bb.44:
	s_barrier
	ds_read_u16 v7, v4
	ds_read_u16 v5, v6 offset:1024
	s_mov_b64 s[0:1], -1
	s_waitcnt lgkmcnt(1)
	global_store_short v[2:3], v7, off
	s_cbranch_execz .LBB8_46
	s_branch .LBB8_49
.LBB8_45:
	s_mov_b64 s[0:1], 0
                                        ; implicit-def: $vgpr5
.LBB8_46:
	s_barrier
	s_waitcnt lgkmcnt(0)
	ds_read_u16 v5, v6 offset:1024
	s_sub_i32 s2, s12, s14
	v_cmp_gt_u32_e32 vcc, s2, v0
	s_and_saveexec_b64 s[0:1], vcc
	s_cbranch_execz .LBB8_48
; %bb.47:
	ds_read_u16 v0, v4
	s_waitcnt lgkmcnt(0)
	global_store_short v[2:3], v0, off
.LBB8_48:
	s_or_b64 exec, exec, s[0:1]
	v_cmp_gt_u32_e64 s[0:1], s2, v1
.LBB8_49:
	s_and_saveexec_b64 s[2:3], s[0:1]
	s_cbranch_execz .LBB8_51
; %bb.50:
	s_waitcnt lgkmcnt(0)
	global_store_short v[2:3], v5, off offset:1024
.LBB8_51:
	s_endpgm
	.section	.rodata,"a",@progbits
	.p2align	6, 0x0
	.amdhsa_kernel _ZN7rocprim17ROCPRIM_304000_NS6detail35device_block_merge_mergepath_kernelINS1_37wrapped_merge_sort_block_merge_configINS0_14default_configEtN2at4cuda3cub6detail10OpaqueTypeILi8EEEEEPtSC_PSA_SD_jNS1_19radix_merge_compareILb1ELb1EtNS0_19identity_decomposerEEEEEvT0_T1_T2_T3_T4_SL_jT5_PKSL_NS1_7vsmem_tE
		.amdhsa_group_segment_fixed_size 8208
		.amdhsa_private_segment_fixed_size 0
		.amdhsa_kernarg_size 320
		.amdhsa_user_sgpr_count 2
		.amdhsa_user_sgpr_dispatch_ptr 0
		.amdhsa_user_sgpr_queue_ptr 0
		.amdhsa_user_sgpr_kernarg_segment_ptr 1
		.amdhsa_user_sgpr_dispatch_id 0
		.amdhsa_user_sgpr_kernarg_preload_length 0
		.amdhsa_user_sgpr_kernarg_preload_offset 0
		.amdhsa_user_sgpr_private_segment_size 0
		.amdhsa_uses_dynamic_stack 0
		.amdhsa_enable_private_segment 0
		.amdhsa_system_sgpr_workgroup_id_x 1
		.amdhsa_system_sgpr_workgroup_id_y 1
		.amdhsa_system_sgpr_workgroup_id_z 1
		.amdhsa_system_sgpr_workgroup_info 0
		.amdhsa_system_vgpr_workitem_id 0
		.amdhsa_next_free_vgpr 14
		.amdhsa_next_free_sgpr 32
		.amdhsa_accum_offset 16
		.amdhsa_reserve_vcc 1
		.amdhsa_float_round_mode_32 0
		.amdhsa_float_round_mode_16_64 0
		.amdhsa_float_denorm_mode_32 3
		.amdhsa_float_denorm_mode_16_64 3
		.amdhsa_dx10_clamp 1
		.amdhsa_ieee_mode 1
		.amdhsa_fp16_overflow 0
		.amdhsa_tg_split 0
		.amdhsa_exception_fp_ieee_invalid_op 0
		.amdhsa_exception_fp_denorm_src 0
		.amdhsa_exception_fp_ieee_div_zero 0
		.amdhsa_exception_fp_ieee_overflow 0
		.amdhsa_exception_fp_ieee_underflow 0
		.amdhsa_exception_fp_ieee_inexact 0
		.amdhsa_exception_int_div_zero 0
	.end_amdhsa_kernel
	.section	.text._ZN7rocprim17ROCPRIM_304000_NS6detail35device_block_merge_mergepath_kernelINS1_37wrapped_merge_sort_block_merge_configINS0_14default_configEtN2at4cuda3cub6detail10OpaqueTypeILi8EEEEEPtSC_PSA_SD_jNS1_19radix_merge_compareILb1ELb1EtNS0_19identity_decomposerEEEEEvT0_T1_T2_T3_T4_SL_jT5_PKSL_NS1_7vsmem_tE,"axG",@progbits,_ZN7rocprim17ROCPRIM_304000_NS6detail35device_block_merge_mergepath_kernelINS1_37wrapped_merge_sort_block_merge_configINS0_14default_configEtN2at4cuda3cub6detail10OpaqueTypeILi8EEEEEPtSC_PSA_SD_jNS1_19radix_merge_compareILb1ELb1EtNS0_19identity_decomposerEEEEEvT0_T1_T2_T3_T4_SL_jT5_PKSL_NS1_7vsmem_tE,comdat
.Lfunc_end8:
	.size	_ZN7rocprim17ROCPRIM_304000_NS6detail35device_block_merge_mergepath_kernelINS1_37wrapped_merge_sort_block_merge_configINS0_14default_configEtN2at4cuda3cub6detail10OpaqueTypeILi8EEEEEPtSC_PSA_SD_jNS1_19radix_merge_compareILb1ELb1EtNS0_19identity_decomposerEEEEEvT0_T1_T2_T3_T4_SL_jT5_PKSL_NS1_7vsmem_tE, .Lfunc_end8-_ZN7rocprim17ROCPRIM_304000_NS6detail35device_block_merge_mergepath_kernelINS1_37wrapped_merge_sort_block_merge_configINS0_14default_configEtN2at4cuda3cub6detail10OpaqueTypeILi8EEEEEPtSC_PSA_SD_jNS1_19radix_merge_compareILb1ELb1EtNS0_19identity_decomposerEEEEEvT0_T1_T2_T3_T4_SL_jT5_PKSL_NS1_7vsmem_tE
                                        ; -- End function
	.set _ZN7rocprim17ROCPRIM_304000_NS6detail35device_block_merge_mergepath_kernelINS1_37wrapped_merge_sort_block_merge_configINS0_14default_configEtN2at4cuda3cub6detail10OpaqueTypeILi8EEEEEPtSC_PSA_SD_jNS1_19radix_merge_compareILb1ELb1EtNS0_19identity_decomposerEEEEEvT0_T1_T2_T3_T4_SL_jT5_PKSL_NS1_7vsmem_tE.num_vgpr, 14
	.set _ZN7rocprim17ROCPRIM_304000_NS6detail35device_block_merge_mergepath_kernelINS1_37wrapped_merge_sort_block_merge_configINS0_14default_configEtN2at4cuda3cub6detail10OpaqueTypeILi8EEEEEPtSC_PSA_SD_jNS1_19radix_merge_compareILb1ELb1EtNS0_19identity_decomposerEEEEEvT0_T1_T2_T3_T4_SL_jT5_PKSL_NS1_7vsmem_tE.num_agpr, 0
	.set _ZN7rocprim17ROCPRIM_304000_NS6detail35device_block_merge_mergepath_kernelINS1_37wrapped_merge_sort_block_merge_configINS0_14default_configEtN2at4cuda3cub6detail10OpaqueTypeILi8EEEEEPtSC_PSA_SD_jNS1_19radix_merge_compareILb1ELb1EtNS0_19identity_decomposerEEEEEvT0_T1_T2_T3_T4_SL_jT5_PKSL_NS1_7vsmem_tE.numbered_sgpr, 32
	.set _ZN7rocprim17ROCPRIM_304000_NS6detail35device_block_merge_mergepath_kernelINS1_37wrapped_merge_sort_block_merge_configINS0_14default_configEtN2at4cuda3cub6detail10OpaqueTypeILi8EEEEEPtSC_PSA_SD_jNS1_19radix_merge_compareILb1ELb1EtNS0_19identity_decomposerEEEEEvT0_T1_T2_T3_T4_SL_jT5_PKSL_NS1_7vsmem_tE.num_named_barrier, 0
	.set _ZN7rocprim17ROCPRIM_304000_NS6detail35device_block_merge_mergepath_kernelINS1_37wrapped_merge_sort_block_merge_configINS0_14default_configEtN2at4cuda3cub6detail10OpaqueTypeILi8EEEEEPtSC_PSA_SD_jNS1_19radix_merge_compareILb1ELb1EtNS0_19identity_decomposerEEEEEvT0_T1_T2_T3_T4_SL_jT5_PKSL_NS1_7vsmem_tE.private_seg_size, 0
	.set _ZN7rocprim17ROCPRIM_304000_NS6detail35device_block_merge_mergepath_kernelINS1_37wrapped_merge_sort_block_merge_configINS0_14default_configEtN2at4cuda3cub6detail10OpaqueTypeILi8EEEEEPtSC_PSA_SD_jNS1_19radix_merge_compareILb1ELb1EtNS0_19identity_decomposerEEEEEvT0_T1_T2_T3_T4_SL_jT5_PKSL_NS1_7vsmem_tE.uses_vcc, 1
	.set _ZN7rocprim17ROCPRIM_304000_NS6detail35device_block_merge_mergepath_kernelINS1_37wrapped_merge_sort_block_merge_configINS0_14default_configEtN2at4cuda3cub6detail10OpaqueTypeILi8EEEEEPtSC_PSA_SD_jNS1_19radix_merge_compareILb1ELb1EtNS0_19identity_decomposerEEEEEvT0_T1_T2_T3_T4_SL_jT5_PKSL_NS1_7vsmem_tE.uses_flat_scratch, 0
	.set _ZN7rocprim17ROCPRIM_304000_NS6detail35device_block_merge_mergepath_kernelINS1_37wrapped_merge_sort_block_merge_configINS0_14default_configEtN2at4cuda3cub6detail10OpaqueTypeILi8EEEEEPtSC_PSA_SD_jNS1_19radix_merge_compareILb1ELb1EtNS0_19identity_decomposerEEEEEvT0_T1_T2_T3_T4_SL_jT5_PKSL_NS1_7vsmem_tE.has_dyn_sized_stack, 0
	.set _ZN7rocprim17ROCPRIM_304000_NS6detail35device_block_merge_mergepath_kernelINS1_37wrapped_merge_sort_block_merge_configINS0_14default_configEtN2at4cuda3cub6detail10OpaqueTypeILi8EEEEEPtSC_PSA_SD_jNS1_19radix_merge_compareILb1ELb1EtNS0_19identity_decomposerEEEEEvT0_T1_T2_T3_T4_SL_jT5_PKSL_NS1_7vsmem_tE.has_recursion, 0
	.set _ZN7rocprim17ROCPRIM_304000_NS6detail35device_block_merge_mergepath_kernelINS1_37wrapped_merge_sort_block_merge_configINS0_14default_configEtN2at4cuda3cub6detail10OpaqueTypeILi8EEEEEPtSC_PSA_SD_jNS1_19radix_merge_compareILb1ELb1EtNS0_19identity_decomposerEEEEEvT0_T1_T2_T3_T4_SL_jT5_PKSL_NS1_7vsmem_tE.has_indirect_call, 0
	.section	.AMDGPU.csdata,"",@progbits
; Kernel info:
; codeLenInByte = 1896
; TotalNumSgprs: 38
; NumVgprs: 14
; NumAgprs: 0
; TotalNumVgprs: 14
; ScratchSize: 0
; MemoryBound: 0
; FloatMode: 240
; IeeeMode: 1
; LDSByteSize: 8208 bytes/workgroup (compile time only)
; SGPRBlocks: 4
; VGPRBlocks: 1
; NumSGPRsForWavesPerEU: 38
; NumVGPRsForWavesPerEU: 14
; AccumOffset: 16
; Occupancy: 8
; WaveLimiterHint : 1
; COMPUTE_PGM_RSRC2:SCRATCH_EN: 0
; COMPUTE_PGM_RSRC2:USER_SGPR: 2
; COMPUTE_PGM_RSRC2:TRAP_HANDLER: 0
; COMPUTE_PGM_RSRC2:TGID_X_EN: 1
; COMPUTE_PGM_RSRC2:TGID_Y_EN: 1
; COMPUTE_PGM_RSRC2:TGID_Z_EN: 1
; COMPUTE_PGM_RSRC2:TIDIG_COMP_CNT: 0
; COMPUTE_PGM_RSRC3_GFX90A:ACCUM_OFFSET: 3
; COMPUTE_PGM_RSRC3_GFX90A:TG_SPLIT: 0
	.section	.text._ZN7rocprim17ROCPRIM_304000_NS6detail33device_block_merge_oddeven_kernelINS1_37wrapped_merge_sort_block_merge_configINS0_14default_configEtN2at4cuda3cub6detail10OpaqueTypeILi8EEEEEPtSC_PSA_SD_jNS1_19radix_merge_compareILb1ELb1EtNS0_19identity_decomposerEEEEEvT0_T1_T2_T3_T4_SL_T5_,"axG",@progbits,_ZN7rocprim17ROCPRIM_304000_NS6detail33device_block_merge_oddeven_kernelINS1_37wrapped_merge_sort_block_merge_configINS0_14default_configEtN2at4cuda3cub6detail10OpaqueTypeILi8EEEEEPtSC_PSA_SD_jNS1_19radix_merge_compareILb1ELb1EtNS0_19identity_decomposerEEEEEvT0_T1_T2_T3_T4_SL_T5_,comdat
	.protected	_ZN7rocprim17ROCPRIM_304000_NS6detail33device_block_merge_oddeven_kernelINS1_37wrapped_merge_sort_block_merge_configINS0_14default_configEtN2at4cuda3cub6detail10OpaqueTypeILi8EEEEEPtSC_PSA_SD_jNS1_19radix_merge_compareILb1ELb1EtNS0_19identity_decomposerEEEEEvT0_T1_T2_T3_T4_SL_T5_ ; -- Begin function _ZN7rocprim17ROCPRIM_304000_NS6detail33device_block_merge_oddeven_kernelINS1_37wrapped_merge_sort_block_merge_configINS0_14default_configEtN2at4cuda3cub6detail10OpaqueTypeILi8EEEEEPtSC_PSA_SD_jNS1_19radix_merge_compareILb1ELb1EtNS0_19identity_decomposerEEEEEvT0_T1_T2_T3_T4_SL_T5_
	.globl	_ZN7rocprim17ROCPRIM_304000_NS6detail33device_block_merge_oddeven_kernelINS1_37wrapped_merge_sort_block_merge_configINS0_14default_configEtN2at4cuda3cub6detail10OpaqueTypeILi8EEEEEPtSC_PSA_SD_jNS1_19radix_merge_compareILb1ELb1EtNS0_19identity_decomposerEEEEEvT0_T1_T2_T3_T4_SL_T5_
	.p2align	8
	.type	_ZN7rocprim17ROCPRIM_304000_NS6detail33device_block_merge_oddeven_kernelINS1_37wrapped_merge_sort_block_merge_configINS0_14default_configEtN2at4cuda3cub6detail10OpaqueTypeILi8EEEEEPtSC_PSA_SD_jNS1_19radix_merge_compareILb1ELb1EtNS0_19identity_decomposerEEEEEvT0_T1_T2_T3_T4_SL_T5_,@function
_ZN7rocprim17ROCPRIM_304000_NS6detail33device_block_merge_oddeven_kernelINS1_37wrapped_merge_sort_block_merge_configINS0_14default_configEtN2at4cuda3cub6detail10OpaqueTypeILi8EEEEEPtSC_PSA_SD_jNS1_19radix_merge_compareILb1ELb1EtNS0_19identity_decomposerEEEEEvT0_T1_T2_T3_T4_SL_T5_: ; @_ZN7rocprim17ROCPRIM_304000_NS6detail33device_block_merge_oddeven_kernelINS1_37wrapped_merge_sort_block_merge_configINS0_14default_configEtN2at4cuda3cub6detail10OpaqueTypeILi8EEEEEPtSC_PSA_SD_jNS1_19radix_merge_compareILb1ELb1EtNS0_19identity_decomposerEEEEEvT0_T1_T2_T3_T4_SL_T5_
; %bb.0:
	s_load_dwordx4 s[16:19], s[0:1], 0x20
	s_waitcnt lgkmcnt(0)
	s_lshr_b32 s3, s16, 8
	s_cmp_eq_u32 s2, s3
	s_cselect_b64 s[6:7], -1, 0
	s_cmp_lg_u32 s2, s3
	s_cselect_b64 s[8:9], -1, 0
	s_lshl_b32 s20, s2, 8
	s_sub_i32 s3, s16, s20
	v_cmp_gt_u32_e64 s[4:5], s3, v0
	s_or_b64 s[8:9], s[8:9], s[4:5]
	s_and_saveexec_b64 s[10:11], s[8:9]
	s_cbranch_execz .LBB9_24
; %bb.1:
	s_load_dwordx8 s[8:15], s[0:1], 0x0
	s_mov_b32 s21, 0
	s_lshl_b64 s[0:1], s[20:21], 1
	v_lshlrev_b32_e32 v5, 3, v0
	v_lshlrev_b32_e32 v1, 1, v0
	s_waitcnt lgkmcnt(0)
	s_add_u32 s0, s8, s0
	s_addc_u32 s1, s9, s1
	s_lshl_b64 s[22:23], s[20:21], 3
	s_add_u32 s12, s12, s22
	s_addc_u32 s13, s13, s23
	global_load_dwordx2 v[2:3], v5, s[12:13]
	global_load_ushort v4, v1, s[0:1]
	s_lshr_b32 s0, s17, 8
	s_sub_i32 s1, 0, s0
	s_and_b32 s1, s2, s1
	s_and_b32 s0, s1, s0
	s_lshl_b32 s19, s1, 8
	s_sub_i32 s12, 0, s17
	s_cmp_eq_u32 s0, 0
	s_cselect_b64 s[0:1], -1, 0
	s_and_b64 s[2:3], s[0:1], exec
	s_cselect_b32 s12, s17, s12
	s_add_i32 s12, s12, s19
	s_mov_b64 s[2:3], -1
	s_cmp_gt_u32 s16, s12
	v_add_u32_e32 v0, s20, v0
	s_cbranch_scc1 .LBB9_9
; %bb.2:
	s_and_b64 vcc, exec, s[6:7]
	s_cbranch_vccz .LBB9_6
; %bb.3:
	v_cmp_gt_u32_e32 vcc, s16, v0
	s_and_saveexec_b64 s[2:3], vcc
	s_cbranch_execz .LBB9_5
; %bb.4:
	v_mov_b32_e32 v1, 0
	v_lshl_add_u64 v[8:9], v[0:1], 1, s[10:11]
	v_lshl_add_u64 v[6:7], v[0:1], 3, s[14:15]
	s_waitcnt vmcnt(0)
	global_store_short v[8:9], v4, off
	global_store_dwordx2 v[6:7], v[2:3], off
.LBB9_5:
	s_or_b64 exec, exec, s[2:3]
	s_mov_b64 s[2:3], 0
.LBB9_6:
	s_andn2_b64 vcc, exec, s[2:3]
	s_cbranch_vccnz .LBB9_8
; %bb.7:
	v_mov_b32_e32 v1, 0
	v_lshl_add_u64 v[6:7], v[0:1], 1, s[10:11]
	v_lshl_add_u64 v[8:9], v[0:1], 3, s[14:15]
	s_waitcnt vmcnt(0)
	global_store_short v[6:7], v4, off
	global_store_dwordx2 v[8:9], v[2:3], off
.LBB9_8:
	s_mov_b64 s[2:3], 0
.LBB9_9:
	s_andn2_b64 vcc, exec, s[2:3]
	s_cbranch_vccnz .LBB9_24
; %bb.10:
	s_min_u32 s13, s12, s16
	s_add_i32 s2, s13, s17
	s_min_u32 s16, s2, s16
	s_min_u32 s2, s19, s13
	s_add_i32 s19, s19, s13
	v_subrev_u32_e32 v0, s19, v0
	v_add_u32_e32 v0, s2, v0
	s_waitcnt vmcnt(0)
	v_and_b32_e32 v1, s18, v4
	s_mov_b64 s[2:3], -1
	s_and_b64 vcc, exec, s[6:7]
	s_cbranch_vccz .LBB9_18
; %bb.11:
	s_and_saveexec_b64 s[2:3], s[4:5]
	s_cbranch_execz .LBB9_17
; %bb.12:
	s_cmp_ge_u32 s12, s16
	v_mov_b32_e32 v5, s13
	s_cbranch_scc1 .LBB9_16
; %bb.13:
	s_mov_b64 s[4:5], 0
	v_mov_b32_e32 v6, s16
	v_mov_b32_e32 v5, s13
.LBB9_14:                               ; =>This Inner Loop Header: Depth=1
	v_add_u32_e32 v7, v5, v6
	v_and_b32_e32 v8, -2, v7
	global_load_ushort v8, v8, s[8:9]
	v_lshrrev_b32_e32 v7, 1, v7
	v_add_u32_e32 v9, 1, v7
	s_waitcnt vmcnt(0)
	v_and_b32_e32 v8, s18, v8
	v_cmp_gt_u16_e32 vcc, v8, v1
	s_nop 1
	v_cndmask_b32_e64 v10, 0, 1, vcc
	v_cmp_le_u16_e32 vcc, v1, v8
	s_nop 1
	v_cndmask_b32_e64 v8, 0, 1, vcc
	v_cndmask_b32_e64 v8, v8, v10, s[0:1]
	v_and_b32_e32 v8, 1, v8
	v_cmp_eq_u32_e32 vcc, 1, v8
	s_nop 1
	v_cndmask_b32_e32 v6, v7, v6, vcc
	v_cndmask_b32_e32 v5, v5, v9, vcc
	v_cmp_ge_u32_e32 vcc, v5, v6
	s_or_b64 s[4:5], vcc, s[4:5]
	s_andn2_b64 exec, exec, s[4:5]
	s_cbranch_execnz .LBB9_14
; %bb.15:
	s_or_b64 exec, exec, s[4:5]
.LBB9_16:
	v_add_u32_e32 v6, v5, v0
	v_mov_b32_e32 v7, 0
	v_lshl_add_u64 v[8:9], v[6:7], 1, s[10:11]
	v_lshl_add_u64 v[6:7], v[6:7], 3, s[14:15]
	global_store_short v[8:9], v4, off
	global_store_dwordx2 v[6:7], v[2:3], off
.LBB9_17:
	s_or_b64 exec, exec, s[2:3]
	s_mov_b64 s[2:3], 0
.LBB9_18:
	s_andn2_b64 vcc, exec, s[2:3]
	s_cbranch_vccnz .LBB9_24
; %bb.19:
	s_cmp_ge_u32 s12, s16
	v_mov_b32_e32 v5, s13
	s_cbranch_scc1 .LBB9_23
; %bb.20:
	s_mov_b64 s[2:3], 0
	v_mov_b32_e32 v6, s16
	v_mov_b32_e32 v5, s13
.LBB9_21:                               ; =>This Inner Loop Header: Depth=1
	v_add_u32_e32 v7, v5, v6
	v_and_b32_e32 v8, -2, v7
	global_load_ushort v8, v8, s[8:9]
	v_lshrrev_b32_e32 v7, 1, v7
	v_add_u32_e32 v9, 1, v7
	s_waitcnt vmcnt(0)
	v_and_b32_e32 v8, s18, v8
	v_cmp_gt_u16_e32 vcc, v8, v1
	s_nop 1
	v_cndmask_b32_e64 v10, 0, 1, vcc
	v_cmp_le_u16_e32 vcc, v1, v8
	s_nop 1
	v_cndmask_b32_e64 v8, 0, 1, vcc
	v_cndmask_b32_e64 v8, v8, v10, s[0:1]
	v_and_b32_e32 v8, 1, v8
	v_cmp_eq_u32_e32 vcc, 1, v8
	s_nop 1
	v_cndmask_b32_e32 v6, v7, v6, vcc
	v_cndmask_b32_e32 v5, v5, v9, vcc
	v_cmp_ge_u32_e32 vcc, v5, v6
	s_or_b64 s[2:3], vcc, s[2:3]
	s_andn2_b64 exec, exec, s[2:3]
	s_cbranch_execnz .LBB9_21
; %bb.22:
	s_or_b64 exec, exec, s[2:3]
.LBB9_23:
	v_add_u32_e32 v0, v5, v0
	v_mov_b32_e32 v1, 0
	v_lshl_add_u64 v[6:7], v[0:1], 1, s[10:11]
	v_lshl_add_u64 v[0:1], v[0:1], 3, s[14:15]
	global_store_short v[6:7], v4, off
	global_store_dwordx2 v[0:1], v[2:3], off
.LBB9_24:
	s_endpgm
	.section	.rodata,"a",@progbits
	.p2align	6, 0x0
	.amdhsa_kernel _ZN7rocprim17ROCPRIM_304000_NS6detail33device_block_merge_oddeven_kernelINS1_37wrapped_merge_sort_block_merge_configINS0_14default_configEtN2at4cuda3cub6detail10OpaqueTypeILi8EEEEEPtSC_PSA_SD_jNS1_19radix_merge_compareILb1ELb1EtNS0_19identity_decomposerEEEEEvT0_T1_T2_T3_T4_SL_T5_
		.amdhsa_group_segment_fixed_size 0
		.amdhsa_private_segment_fixed_size 0
		.amdhsa_kernarg_size 44
		.amdhsa_user_sgpr_count 2
		.amdhsa_user_sgpr_dispatch_ptr 0
		.amdhsa_user_sgpr_queue_ptr 0
		.amdhsa_user_sgpr_kernarg_segment_ptr 1
		.amdhsa_user_sgpr_dispatch_id 0
		.amdhsa_user_sgpr_kernarg_preload_length 0
		.amdhsa_user_sgpr_kernarg_preload_offset 0
		.amdhsa_user_sgpr_private_segment_size 0
		.amdhsa_uses_dynamic_stack 0
		.amdhsa_enable_private_segment 0
		.amdhsa_system_sgpr_workgroup_id_x 1
		.amdhsa_system_sgpr_workgroup_id_y 0
		.amdhsa_system_sgpr_workgroup_id_z 0
		.amdhsa_system_sgpr_workgroup_info 0
		.amdhsa_system_vgpr_workitem_id 0
		.amdhsa_next_free_vgpr 11
		.amdhsa_next_free_sgpr 24
		.amdhsa_accum_offset 12
		.amdhsa_reserve_vcc 1
		.amdhsa_float_round_mode_32 0
		.amdhsa_float_round_mode_16_64 0
		.amdhsa_float_denorm_mode_32 3
		.amdhsa_float_denorm_mode_16_64 3
		.amdhsa_dx10_clamp 1
		.amdhsa_ieee_mode 1
		.amdhsa_fp16_overflow 0
		.amdhsa_tg_split 0
		.amdhsa_exception_fp_ieee_invalid_op 0
		.amdhsa_exception_fp_denorm_src 0
		.amdhsa_exception_fp_ieee_div_zero 0
		.amdhsa_exception_fp_ieee_overflow 0
		.amdhsa_exception_fp_ieee_underflow 0
		.amdhsa_exception_fp_ieee_inexact 0
		.amdhsa_exception_int_div_zero 0
	.end_amdhsa_kernel
	.section	.text._ZN7rocprim17ROCPRIM_304000_NS6detail33device_block_merge_oddeven_kernelINS1_37wrapped_merge_sort_block_merge_configINS0_14default_configEtN2at4cuda3cub6detail10OpaqueTypeILi8EEEEEPtSC_PSA_SD_jNS1_19radix_merge_compareILb1ELb1EtNS0_19identity_decomposerEEEEEvT0_T1_T2_T3_T4_SL_T5_,"axG",@progbits,_ZN7rocprim17ROCPRIM_304000_NS6detail33device_block_merge_oddeven_kernelINS1_37wrapped_merge_sort_block_merge_configINS0_14default_configEtN2at4cuda3cub6detail10OpaqueTypeILi8EEEEEPtSC_PSA_SD_jNS1_19radix_merge_compareILb1ELb1EtNS0_19identity_decomposerEEEEEvT0_T1_T2_T3_T4_SL_T5_,comdat
.Lfunc_end9:
	.size	_ZN7rocprim17ROCPRIM_304000_NS6detail33device_block_merge_oddeven_kernelINS1_37wrapped_merge_sort_block_merge_configINS0_14default_configEtN2at4cuda3cub6detail10OpaqueTypeILi8EEEEEPtSC_PSA_SD_jNS1_19radix_merge_compareILb1ELb1EtNS0_19identity_decomposerEEEEEvT0_T1_T2_T3_T4_SL_T5_, .Lfunc_end9-_ZN7rocprim17ROCPRIM_304000_NS6detail33device_block_merge_oddeven_kernelINS1_37wrapped_merge_sort_block_merge_configINS0_14default_configEtN2at4cuda3cub6detail10OpaqueTypeILi8EEEEEPtSC_PSA_SD_jNS1_19radix_merge_compareILb1ELb1EtNS0_19identity_decomposerEEEEEvT0_T1_T2_T3_T4_SL_T5_
                                        ; -- End function
	.set _ZN7rocprim17ROCPRIM_304000_NS6detail33device_block_merge_oddeven_kernelINS1_37wrapped_merge_sort_block_merge_configINS0_14default_configEtN2at4cuda3cub6detail10OpaqueTypeILi8EEEEEPtSC_PSA_SD_jNS1_19radix_merge_compareILb1ELb1EtNS0_19identity_decomposerEEEEEvT0_T1_T2_T3_T4_SL_T5_.num_vgpr, 11
	.set _ZN7rocprim17ROCPRIM_304000_NS6detail33device_block_merge_oddeven_kernelINS1_37wrapped_merge_sort_block_merge_configINS0_14default_configEtN2at4cuda3cub6detail10OpaqueTypeILi8EEEEEPtSC_PSA_SD_jNS1_19radix_merge_compareILb1ELb1EtNS0_19identity_decomposerEEEEEvT0_T1_T2_T3_T4_SL_T5_.num_agpr, 0
	.set _ZN7rocprim17ROCPRIM_304000_NS6detail33device_block_merge_oddeven_kernelINS1_37wrapped_merge_sort_block_merge_configINS0_14default_configEtN2at4cuda3cub6detail10OpaqueTypeILi8EEEEEPtSC_PSA_SD_jNS1_19radix_merge_compareILb1ELb1EtNS0_19identity_decomposerEEEEEvT0_T1_T2_T3_T4_SL_T5_.numbered_sgpr, 24
	.set _ZN7rocprim17ROCPRIM_304000_NS6detail33device_block_merge_oddeven_kernelINS1_37wrapped_merge_sort_block_merge_configINS0_14default_configEtN2at4cuda3cub6detail10OpaqueTypeILi8EEEEEPtSC_PSA_SD_jNS1_19radix_merge_compareILb1ELb1EtNS0_19identity_decomposerEEEEEvT0_T1_T2_T3_T4_SL_T5_.num_named_barrier, 0
	.set _ZN7rocprim17ROCPRIM_304000_NS6detail33device_block_merge_oddeven_kernelINS1_37wrapped_merge_sort_block_merge_configINS0_14default_configEtN2at4cuda3cub6detail10OpaqueTypeILi8EEEEEPtSC_PSA_SD_jNS1_19radix_merge_compareILb1ELb1EtNS0_19identity_decomposerEEEEEvT0_T1_T2_T3_T4_SL_T5_.private_seg_size, 0
	.set _ZN7rocprim17ROCPRIM_304000_NS6detail33device_block_merge_oddeven_kernelINS1_37wrapped_merge_sort_block_merge_configINS0_14default_configEtN2at4cuda3cub6detail10OpaqueTypeILi8EEEEEPtSC_PSA_SD_jNS1_19radix_merge_compareILb1ELb1EtNS0_19identity_decomposerEEEEEvT0_T1_T2_T3_T4_SL_T5_.uses_vcc, 1
	.set _ZN7rocprim17ROCPRIM_304000_NS6detail33device_block_merge_oddeven_kernelINS1_37wrapped_merge_sort_block_merge_configINS0_14default_configEtN2at4cuda3cub6detail10OpaqueTypeILi8EEEEEPtSC_PSA_SD_jNS1_19radix_merge_compareILb1ELb1EtNS0_19identity_decomposerEEEEEvT0_T1_T2_T3_T4_SL_T5_.uses_flat_scratch, 0
	.set _ZN7rocprim17ROCPRIM_304000_NS6detail33device_block_merge_oddeven_kernelINS1_37wrapped_merge_sort_block_merge_configINS0_14default_configEtN2at4cuda3cub6detail10OpaqueTypeILi8EEEEEPtSC_PSA_SD_jNS1_19radix_merge_compareILb1ELb1EtNS0_19identity_decomposerEEEEEvT0_T1_T2_T3_T4_SL_T5_.has_dyn_sized_stack, 0
	.set _ZN7rocprim17ROCPRIM_304000_NS6detail33device_block_merge_oddeven_kernelINS1_37wrapped_merge_sort_block_merge_configINS0_14default_configEtN2at4cuda3cub6detail10OpaqueTypeILi8EEEEEPtSC_PSA_SD_jNS1_19radix_merge_compareILb1ELb1EtNS0_19identity_decomposerEEEEEvT0_T1_T2_T3_T4_SL_T5_.has_recursion, 0
	.set _ZN7rocprim17ROCPRIM_304000_NS6detail33device_block_merge_oddeven_kernelINS1_37wrapped_merge_sort_block_merge_configINS0_14default_configEtN2at4cuda3cub6detail10OpaqueTypeILi8EEEEEPtSC_PSA_SD_jNS1_19radix_merge_compareILb1ELb1EtNS0_19identity_decomposerEEEEEvT0_T1_T2_T3_T4_SL_T5_.has_indirect_call, 0
	.section	.AMDGPU.csdata,"",@progbits
; Kernel info:
; codeLenInByte = 740
; TotalNumSgprs: 30
; NumVgprs: 11
; NumAgprs: 0
; TotalNumVgprs: 11
; ScratchSize: 0
; MemoryBound: 0
; FloatMode: 240
; IeeeMode: 1
; LDSByteSize: 0 bytes/workgroup (compile time only)
; SGPRBlocks: 3
; VGPRBlocks: 1
; NumSGPRsForWavesPerEU: 30
; NumVGPRsForWavesPerEU: 11
; AccumOffset: 12
; Occupancy: 8
; WaveLimiterHint : 0
; COMPUTE_PGM_RSRC2:SCRATCH_EN: 0
; COMPUTE_PGM_RSRC2:USER_SGPR: 2
; COMPUTE_PGM_RSRC2:TRAP_HANDLER: 0
; COMPUTE_PGM_RSRC2:TGID_X_EN: 1
; COMPUTE_PGM_RSRC2:TGID_Y_EN: 0
; COMPUTE_PGM_RSRC2:TGID_Z_EN: 0
; COMPUTE_PGM_RSRC2:TIDIG_COMP_CNT: 0
; COMPUTE_PGM_RSRC3_GFX90A:ACCUM_OFFSET: 2
; COMPUTE_PGM_RSRC3_GFX90A:TG_SPLIT: 0
	.section	.text._ZN7rocprim17ROCPRIM_304000_NS6detail26onesweep_histograms_kernelINS1_34wrapped_radix_sort_onesweep_configINS0_14default_configEtN2at4cuda3cub6detail10OpaqueTypeILi8EEEEELb1EPKtmNS0_19identity_decomposerEEEvT1_PT2_SG_SG_T3_jj,"axG",@progbits,_ZN7rocprim17ROCPRIM_304000_NS6detail26onesweep_histograms_kernelINS1_34wrapped_radix_sort_onesweep_configINS0_14default_configEtN2at4cuda3cub6detail10OpaqueTypeILi8EEEEELb1EPKtmNS0_19identity_decomposerEEEvT1_PT2_SG_SG_T3_jj,comdat
	.protected	_ZN7rocprim17ROCPRIM_304000_NS6detail26onesweep_histograms_kernelINS1_34wrapped_radix_sort_onesweep_configINS0_14default_configEtN2at4cuda3cub6detail10OpaqueTypeILi8EEEEELb1EPKtmNS0_19identity_decomposerEEEvT1_PT2_SG_SG_T3_jj ; -- Begin function _ZN7rocprim17ROCPRIM_304000_NS6detail26onesweep_histograms_kernelINS1_34wrapped_radix_sort_onesweep_configINS0_14default_configEtN2at4cuda3cub6detail10OpaqueTypeILi8EEEEELb1EPKtmNS0_19identity_decomposerEEEvT1_PT2_SG_SG_T3_jj
	.globl	_ZN7rocprim17ROCPRIM_304000_NS6detail26onesweep_histograms_kernelINS1_34wrapped_radix_sort_onesweep_configINS0_14default_configEtN2at4cuda3cub6detail10OpaqueTypeILi8EEEEELb1EPKtmNS0_19identity_decomposerEEEvT1_PT2_SG_SG_T3_jj
	.p2align	8
	.type	_ZN7rocprim17ROCPRIM_304000_NS6detail26onesweep_histograms_kernelINS1_34wrapped_radix_sort_onesweep_configINS0_14default_configEtN2at4cuda3cub6detail10OpaqueTypeILi8EEEEELb1EPKtmNS0_19identity_decomposerEEEvT1_PT2_SG_SG_T3_jj,@function
_ZN7rocprim17ROCPRIM_304000_NS6detail26onesweep_histograms_kernelINS1_34wrapped_radix_sort_onesweep_configINS0_14default_configEtN2at4cuda3cub6detail10OpaqueTypeILi8EEEEELb1EPKtmNS0_19identity_decomposerEEEvT1_PT2_SG_SG_T3_jj: ; @_ZN7rocprim17ROCPRIM_304000_NS6detail26onesweep_histograms_kernelINS1_34wrapped_radix_sort_onesweep_configINS0_14default_configEtN2at4cuda3cub6detail10OpaqueTypeILi8EEEEELb1EPKtmNS0_19identity_decomposerEEEvT1_PT2_SG_SG_T3_jj
; %bb.0:
	s_load_dwordx8 s[36:43], s[0:1], 0x0
	s_load_dwordx2 s[44:45], s[0:1], 0x24
	v_mov_b32_e32 v2, s2
	v_mov_b32_e32 v3, 0
	s_mul_hi_u32 s0, s2, 0x2400
	s_mulk_i32 s2, 0x2400
	s_waitcnt lgkmcnt(0)
	v_cmp_le_u64_e32 vcc, s[42:43], v[2:3]
	s_add_u32 s46, s36, s2
	s_addc_u32 s47, s37, s0
	s_mov_b64 s[0:1], -1
	v_lshlrev_b32_e32 v2, 1, v0
	s_cbranch_vccz .LBB10_122
; %bb.1:
	s_mul_i32 s33, s42, 0xffffee00
	s_add_i32 s33, s33, s40
	v_lshl_add_u64 v[4:5], s[46:47], 0, v[2:3]
	v_cmp_gt_u32_e64 s[36:37], s33, v0
	v_mov_b32_e32 v21, 0
	s_and_saveexec_b64 s[0:1], s[36:37]
	s_cbranch_execz .LBB10_3
; %bb.2:
	global_load_ushort v1, v[4:5], off
	s_waitcnt vmcnt(0)
	v_xor_b32_e32 v1, -1, v1
	v_and_b32_e32 v21, 0xffff, v1
.LBB10_3:
	s_or_b64 exec, exec, s[0:1]
	v_or_b32_e32 v1, 0x100, v0
	v_cmp_gt_u32_e64 s[34:35], s33, v1
	s_and_saveexec_b64 s[0:1], s[34:35]
	s_cbranch_execz .LBB10_5
; %bb.4:
	global_load_ushort v1, v[4:5], off offset:512
	s_waitcnt vmcnt(0)
	v_xor_b32_e32 v1, -1, v1
	v_and_b32_e32 v3, 0xffff, v1
.LBB10_5:
	s_or_b64 exec, exec, s[0:1]
	v_or_b32_e32 v1, 0x200, v0
	v_cmp_gt_u32_e64 s[30:31], s33, v1
	v_mov_b32_e32 v18, 0
	v_mov_b32_e32 v20, 0
	s_and_saveexec_b64 s[0:1], s[30:31]
	s_cbranch_execz .LBB10_7
; %bb.6:
	global_load_ushort v1, v[4:5], off offset:1024
	s_waitcnt vmcnt(0)
	v_xor_b32_e32 v1, -1, v1
	v_and_b32_e32 v20, 0xffff, v1
.LBB10_7:
	s_or_b64 exec, exec, s[0:1]
	v_or_b32_e32 v1, 0x300, v0
	v_cmp_gt_u32_e64 s[28:29], s33, v1
	s_and_saveexec_b64 s[0:1], s[28:29]
	s_cbranch_execz .LBB10_9
; %bb.8:
	global_load_ushort v1, v[4:5], off offset:1536
	s_waitcnt vmcnt(0)
	v_xor_b32_e32 v1, -1, v1
	v_and_b32_e32 v18, 0xffff, v1
.LBB10_9:
	s_or_b64 exec, exec, s[0:1]
	v_or_b32_e32 v1, 0x400, v0
	v_cmp_gt_u32_e64 s[26:27], s33, v1
	v_mov_b32_e32 v16, 0
	v_mov_b32_e32 v19, 0
	s_and_saveexec_b64 s[0:1], s[26:27]
	s_cbranch_execz .LBB10_11
; %bb.10:
	global_load_ushort v1, v[4:5], off offset:2048
	s_waitcnt vmcnt(0)
	v_xor_b32_e32 v1, -1, v1
	v_and_b32_e32 v19, 0xffff, v1
.LBB10_11:
	s_or_b64 exec, exec, s[0:1]
	v_or_b32_e32 v1, 0x500, v0
	v_cmp_gt_u32_e64 s[24:25], s33, v1
	s_and_saveexec_b64 s[0:1], s[24:25]
	s_cbranch_execz .LBB10_13
; %bb.12:
	global_load_ushort v1, v[4:5], off offset:2560
	s_waitcnt vmcnt(0)
	v_xor_b32_e32 v1, -1, v1
	v_and_b32_e32 v16, 0xffff, v1
.LBB10_13:
	s_or_b64 exec, exec, s[0:1]
	v_or_b32_e32 v1, 0x600, v0
	v_cmp_gt_u32_e64 s[22:23], s33, v1
	v_mov_b32_e32 v14, 0
	v_mov_b32_e32 v17, 0
	s_and_saveexec_b64 s[0:1], s[22:23]
	s_cbranch_execz .LBB10_15
; %bb.14:
	global_load_ushort v1, v[4:5], off offset:3072
	s_waitcnt vmcnt(0)
	v_xor_b32_e32 v1, -1, v1
	v_and_b32_e32 v17, 0xffff, v1
.LBB10_15:
	s_or_b64 exec, exec, s[0:1]
	v_or_b32_e32 v1, 0x700, v0
	v_cmp_gt_u32_e64 s[20:21], s33, v1
	s_and_saveexec_b64 s[0:1], s[20:21]
	s_cbranch_execz .LBB10_17
; %bb.16:
	global_load_ushort v1, v[4:5], off offset:3584
	s_waitcnt vmcnt(0)
	v_xor_b32_e32 v1, -1, v1
	v_and_b32_e32 v14, 0xffff, v1
.LBB10_17:
	s_or_b64 exec, exec, s[0:1]
	v_or_b32_e32 v1, 0x800, v0
	v_cmp_gt_u32_e64 s[18:19], s33, v1
	v_mov_b32_e32 v12, 0
	v_mov_b32_e32 v15, 0
	s_and_saveexec_b64 s[0:1], s[18:19]
	s_cbranch_execz .LBB10_19
; %bb.18:
	v_add_co_u32_e32 v6, vcc, 0x1000, v4
	s_nop 1
	v_addc_co_u32_e32 v7, vcc, 0, v5, vcc
	global_load_ushort v1, v[6:7], off
	s_waitcnt vmcnt(0)
	v_xor_b32_e32 v1, -1, v1
	v_and_b32_e32 v15, 0xffff, v1
.LBB10_19:
	s_or_b64 exec, exec, s[0:1]
	v_or_b32_e32 v1, 0x900, v0
	v_cmp_gt_u32_e64 s[16:17], s33, v1
	s_and_saveexec_b64 s[0:1], s[16:17]
	s_cbranch_execz .LBB10_21
; %bb.20:
	v_add_co_u32_e32 v6, vcc, 0x1000, v4
	s_nop 1
	v_addc_co_u32_e32 v7, vcc, 0, v5, vcc
	global_load_ushort v1, v[6:7], off offset:512
	s_waitcnt vmcnt(0)
	v_xor_b32_e32 v1, -1, v1
	v_and_b32_e32 v12, 0xffff, v1
.LBB10_21:
	s_or_b64 exec, exec, s[0:1]
	v_or_b32_e32 v1, 0xa00, v0
	v_cmp_gt_u32_e64 s[14:15], s33, v1
	v_mov_b32_e32 v10, 0
	v_mov_b32_e32 v13, 0
	s_and_saveexec_b64 s[0:1], s[14:15]
	s_cbranch_execz .LBB10_23
; %bb.22:
	v_add_co_u32_e32 v6, vcc, 0x1000, v4
	s_nop 1
	v_addc_co_u32_e32 v7, vcc, 0, v5, vcc
	global_load_ushort v1, v[6:7], off offset:1024
	s_waitcnt vmcnt(0)
	v_xor_b32_e32 v1, -1, v1
	v_and_b32_e32 v13, 0xffff, v1
.LBB10_23:
	s_or_b64 exec, exec, s[0:1]
	v_or_b32_e32 v1, 0xb00, v0
	v_cmp_gt_u32_e64 s[12:13], s33, v1
	s_and_saveexec_b64 s[0:1], s[12:13]
	s_cbranch_execz .LBB10_25
; %bb.24:
	v_add_co_u32_e32 v6, vcc, 0x1000, v4
	s_nop 1
	v_addc_co_u32_e32 v7, vcc, 0, v5, vcc
	global_load_ushort v1, v[6:7], off offset:1536
	s_waitcnt vmcnt(0)
	v_xor_b32_e32 v1, -1, v1
	v_and_b32_e32 v10, 0xffff, v1
.LBB10_25:
	s_or_b64 exec, exec, s[0:1]
	v_or_b32_e32 v1, 0xc00, v0
	v_cmp_gt_u32_e64 s[10:11], s33, v1
	v_mov_b32_e32 v8, 0
	v_mov_b32_e32 v11, 0
	s_and_saveexec_b64 s[0:1], s[10:11]
	s_cbranch_execz .LBB10_27
; %bb.26:
	v_add_co_u32_e32 v6, vcc, 0x1000, v4
	s_nop 1
	v_addc_co_u32_e32 v7, vcc, 0, v5, vcc
	global_load_ushort v1, v[6:7], off offset:2048
	s_waitcnt vmcnt(0)
	v_xor_b32_e32 v1, -1, v1
	v_and_b32_e32 v11, 0xffff, v1
.LBB10_27:
	;; [unrolled: 30-line block ×3, first 2 shown]
	s_or_b64 exec, exec, s[0:1]
	v_or_b32_e32 v1, 0xf00, v0
	v_cmp_gt_u32_e64 s[4:5], s33, v1
	s_and_saveexec_b64 s[0:1], s[4:5]
	s_cbranch_execz .LBB10_33
; %bb.32:
	v_add_co_u32_e32 v6, vcc, 0x1000, v4
	s_nop 1
	v_addc_co_u32_e32 v7, vcc, 0, v5, vcc
	global_load_ushort v1, v[6:7], off offset:3584
	s_waitcnt vmcnt(0)
	v_xor_b32_e32 v1, -1, v1
	v_and_b32_e32 v6, 0xffff, v1
.LBB10_33:
	s_or_b64 exec, exec, s[0:1]
	v_or_b32_e32 v1, 0x1000, v0
	v_cmp_gt_u32_e64 s[2:3], s33, v1
	v_mov_b32_e32 v1, 0
	v_mov_b32_e32 v7, 0
	s_and_saveexec_b64 s[0:1], s[2:3]
	s_cbranch_execz .LBB10_35
; %bb.34:
	v_add_co_u32_e32 v22, vcc, 0x2000, v4
	s_nop 1
	v_addc_co_u32_e32 v23, vcc, 0, v5, vcc
	global_load_ushort v7, v[22:23], off
	s_waitcnt vmcnt(0)
	v_xor_b32_e32 v7, -1, v7
	v_and_b32_e32 v7, 0xffff, v7
.LBB10_35:
	s_or_b64 exec, exec, s[0:1]
	v_or_b32_e32 v22, 0x1100, v0
	v_cmp_gt_u32_e64 s[0:1], s33, v22
	s_and_saveexec_b64 s[40:41], s[0:1]
	s_cbranch_execz .LBB10_37
; %bb.36:
	v_add_co_u32_e32 v4, vcc, 0x2000, v4
	s_nop 1
	v_addc_co_u32_e32 v5, vcc, 0, v5, vcc
	global_load_ushort v1, v[4:5], off offset:512
	s_waitcnt vmcnt(0)
	v_xor_b32_e32 v1, -1, v1
	v_and_b32_e32 v1, 0xffff, v1
.LBB10_37:
	s_or_b64 exec, exec, s[40:41]
	s_mov_b32 s40, 0
	v_lshlrev_b32_e32 v4, 2, v0
	s_mov_b32 s41, 1
	s_mov_b64 s[42:43], 0
	v_mov_b32_e32 v5, 0
	s_mov_b32 s48, s40
	s_branch .LBB10_39
.LBB10_38:                              ;   in Loop: Header=BB10_39 Depth=1
	s_or_b64 exec, exec, s[52:53]
	s_add_i32 s48, s48, 2
	v_cmp_eq_u32_e64 s[50:51], 8, s48
	s_or_b64 s[42:43], s[50:51], s[42:43]
	v_add_u32_e32 v4, 0x800, v4
	s_andn2_b64 exec, exec, s[42:43]
	s_cbranch_execz .LBB10_43
.LBB10_39:                              ; =>This Inner Loop Header: Depth=1
	s_mov_b32 s49, s48
	s_or_b64 s[52:53], s[48:49], s[40:41]
	v_cmp_le_u32_e64 s[50:51], s53, 7
	v_cmp_le_u32_e64 s[54:55], s52, 7
	s_and_saveexec_b64 s[52:53], s[54:55]
; %bb.40:                               ;   in Loop: Header=BB10_39 Depth=1
	ds_write_b32 v4, v5
; %bb.41:                               ;   in Loop: Header=BB10_39 Depth=1
	s_or_b64 exec, exec, s[52:53]
	s_and_saveexec_b64 s[52:53], s[50:51]
	s_cbranch_execz .LBB10_38
; %bb.42:                               ;   in Loop: Header=BB10_39 Depth=1
	ds_write_b32 v4, v5 offset:1024
	s_branch .LBB10_38
.LBB10_43:
	s_or_b64 exec, exec, s[42:43]
	s_cmp_gt_u32 s45, s44
	s_cselect_b64 s[40:41], -1, 0
	s_cmp_le_u32 s45, s44
	s_waitcnt lgkmcnt(0)
	s_barrier
	s_cbranch_scc1 .LBB10_116
; %bb.44:
	v_and_b32_e32 v4, 3, v0
	v_lshlrev_b32_e32 v4, 2, v4
	s_sub_i32 s33, s45, s44
	v_mov_b32_e32 v5, 1
	s_mov_b32 s48, s33
	v_mov_b32_e32 v22, v4
	s_mov_b32 s49, s44
	s_branch .LBB10_46
.LBB10_45:                              ;   in Loop: Header=BB10_46 Depth=1
	s_or_b64 exec, exec, s[42:43]
	s_add_i32 s49, s49, 8
	s_add_i32 s48, s48, -8
	s_cmp_lt_u32 s49, s45
	v_add_u32_e32 v22, 0x1000, v22
	s_cbranch_scc0 .LBB10_48
.LBB10_46:                              ; =>This Inner Loop Header: Depth=1
	s_and_saveexec_b64 s[42:43], s[36:37]
	s_cbranch_execz .LBB10_45
; %bb.47:                               ;   in Loop: Header=BB10_46 Depth=1
	s_min_u32 s50, s48, 8
	v_lshrrev_b32_e32 v23, s49, v21
	v_bfe_u32 v23, v23, 0, s50
	v_lshl_add_u32 v23, v23, 4, v22
	ds_add_u32 v23, v5
	s_branch .LBB10_45
.LBB10_48:
	v_mov_b32_e32 v5, 1
	s_mov_b32 s42, s33
	v_mov_b32_e32 v21, v4
	s_mov_b32 s43, s44
	s_branch .LBB10_50
.LBB10_49:                              ;   in Loop: Header=BB10_50 Depth=1
	s_or_b64 exec, exec, s[36:37]
	s_add_i32 s43, s43, 8
	s_add_i32 s42, s42, -8
	s_cmp_lt_u32 s43, s45
	v_add_u32_e32 v21, 0x1000, v21
	s_cbranch_scc0 .LBB10_52
.LBB10_50:                              ; =>This Inner Loop Header: Depth=1
	s_and_saveexec_b64 s[36:37], s[34:35]
	s_cbranch_execz .LBB10_49
; %bb.51:                               ;   in Loop: Header=BB10_50 Depth=1
	s_min_u32 s48, s42, 8
	v_lshrrev_b32_e32 v22, s43, v3
	v_bfe_u32 v22, v22, 0, s48
	v_lshl_add_u32 v22, v22, 4, v21
	ds_add_u32 v22, v5
	s_branch .LBB10_49
.LBB10_52:
	;; [unrolled: 23-line block ×14, first 2 shown]
	v_mov_b32_e32 v3, 1
	s_mov_b32 s10, s33
	v_mov_b32_e32 v5, v4
	s_mov_b32 s11, s44
	s_branch .LBB10_102
.LBB10_101:                             ;   in Loop: Header=BB10_102 Depth=1
	s_or_b64 exec, exec, s[8:9]
	s_add_i32 s11, s11, 8
	s_add_i32 s10, s10, -8
	s_cmp_lt_u32 s11, s45
	v_add_u32_e32 v5, 0x1000, v5
	s_cbranch_scc0 .LBB10_104
.LBB10_102:                             ; =>This Inner Loop Header: Depth=1
	s_and_saveexec_b64 s[8:9], s[6:7]
	s_cbranch_execz .LBB10_101
; %bb.103:                              ;   in Loop: Header=BB10_102 Depth=1
	s_min_u32 s12, s10, 8
	v_lshrrev_b32_e32 v8, s11, v9
	v_bfe_u32 v8, v8, 0, s12
	v_lshl_add_u32 v8, v8, 4, v5
	ds_add_u32 v8, v3
	s_branch .LBB10_101
.LBB10_104:
	v_mov_b32_e32 v3, 1
	s_mov_b32 s8, s33
	v_mov_b32_e32 v5, v4
	s_mov_b32 s9, s44
	s_branch .LBB10_106
.LBB10_105:                             ;   in Loop: Header=BB10_106 Depth=1
	s_or_b64 exec, exec, s[6:7]
	s_add_i32 s9, s9, 8
	s_add_i32 s8, s8, -8
	s_cmp_lt_u32 s9, s45
	v_add_u32_e32 v5, 0x1000, v5
	s_cbranch_scc0 .LBB10_108
.LBB10_106:                             ; =>This Inner Loop Header: Depth=1
	s_and_saveexec_b64 s[6:7], s[4:5]
	s_cbranch_execz .LBB10_105
; %bb.107:                              ;   in Loop: Header=BB10_106 Depth=1
	s_min_u32 s10, s8, 8
	v_lshrrev_b32_e32 v8, s9, v6
	v_bfe_u32 v8, v8, 0, s10
	v_lshl_add_u32 v8, v8, 4, v5
	ds_add_u32 v8, v3
	s_branch .LBB10_105
.LBB10_108:
	;; [unrolled: 23-line block ×3, first 2 shown]
	v_mov_b32_e32 v3, 1
	s_mov_b32 s4, s44
	s_branch .LBB10_114
.LBB10_113:                             ;   in Loop: Header=BB10_114 Depth=1
	s_or_b64 exec, exec, s[2:3]
	s_add_i32 s4, s4, 8
	s_add_i32 s33, s33, -8
	s_cmp_lt_u32 s4, s45
	v_add_u32_e32 v4, 0x1000, v4
	s_cbranch_scc0 .LBB10_116
.LBB10_114:                             ; =>This Inner Loop Header: Depth=1
	s_and_saveexec_b64 s[2:3], s[0:1]
	s_cbranch_execz .LBB10_113
; %bb.115:                              ;   in Loop: Header=BB10_114 Depth=1
	s_min_u32 s5, s33, 8
	v_lshrrev_b32_e32 v5, s4, v1
	v_bfe_u32 v5, v5, 0, s5
	v_lshl_add_u32 v5, v5, 4, v4
	ds_add_u32 v5, v3
	s_branch .LBB10_113
.LBB10_116:
	s_and_b64 vcc, exec, s[40:41]
	s_waitcnt lgkmcnt(0)
	s_barrier
	s_cbranch_vccz .LBB10_121
; %bb.117:
	s_movk_i32 s0, 0x100
	v_cmp_gt_u32_e32 vcc, s0, v0
	v_lshlrev_b32_e32 v1, 4, v0
	v_mov_b32_e32 v5, 0
	v_mov_b32_e32 v4, v0
	s_mov_b32 s2, s44
	s_branch .LBB10_119
.LBB10_118:                             ;   in Loop: Header=BB10_119 Depth=1
	s_or_b64 exec, exec, s[0:1]
	s_add_i32 s2, s2, 8
	v_add_u32_e32 v4, 0x100, v4
	s_cmp_lt_u32 s2, s45
	v_add_u32_e32 v1, 0x1000, v1
	s_cbranch_scc0 .LBB10_121
.LBB10_119:                             ; =>This Inner Loop Header: Depth=1
	s_and_saveexec_b64 s[0:1], vcc
	s_cbranch_execz .LBB10_118
; %bb.120:                              ;   in Loop: Header=BB10_119 Depth=1
	ds_read2_b32 v[6:7], v1 offset1:1
	ds_read2_b32 v[8:9], v1 offset0:2 offset1:3
	v_lshl_add_u64 v[10:11], v[4:5], 3, s[38:39]
	s_waitcnt lgkmcnt(1)
	v_add_u32_e32 v3, v7, v6
	s_waitcnt lgkmcnt(0)
	v_add3_u32 v6, v3, v8, v9
	v_mov_b32_e32 v7, v5
	global_atomic_add_x2 v[10:11], v[6:7], off
	s_branch .LBB10_118
.LBB10_121:
	s_mov_b64 s[0:1], 0
.LBB10_122:
	s_and_b64 vcc, exec, s[0:1]
	s_cbranch_vccz .LBB10_182
; %bb.123:
	v_mov_b32_e32 v3, 0
	v_lshl_add_u64 v[20:21], s[46:47], 0, v[2:3]
	s_movk_i32 s0, 0x1000
	v_add_co_u32_e32 v22, vcc, s0, v20
	global_load_ushort v1, v2, s[46:47]
	global_load_ushort v4, v2, s[46:47] offset:512
	global_load_ushort v5, v2, s[46:47] offset:1024
	;; [unrolled: 1-line block ×7, first 2 shown]
	v_addc_co_u32_e32 v23, vcc, 0, v21, vcc
	global_load_ushort v11, v[22:23], off
	global_load_ushort v12, v[22:23], off offset:512
	global_load_ushort v13, v[22:23], off offset:1024
	;; [unrolled: 1-line block ×7, first 2 shown]
	v_add_co_u32_e32 v22, vcc, 0x2000, v20
	s_cmp_eq_u32 s44, 0
	s_nop 0
	v_addc_co_u32_e32 v23, vcc, 0, v21, vcc
	global_load_ushort v19, v[22:23], off
	global_load_ushort v20, v[22:23], off offset:512
	s_cselect_b64 s[2:3], -1, 0
	s_cmp_eq_u32 s45, 16
	s_cselect_b64 s[4:5], -1, 0
	s_mov_b32 s0, 0
	s_and_b64 s[4:5], s[2:3], s[4:5]
	s_mov_b32 s1, 1
	s_mov_b64 s[2:3], -1
	s_and_b64 vcc, exec, s[4:5]
	v_lshlrev_b32_e32 v21, 2, v0
	s_cbranch_vccnz .LBB10_173
; %bb.124:
	v_lshlrev_b32_e32 v2, 2, v0
	s_mov_b64 s[2:3], 0
	s_mov_b32 s4, s0
	s_branch .LBB10_126
.LBB10_125:                             ;   in Loop: Header=BB10_126 Depth=1
	s_or_b64 exec, exec, s[8:9]
	s_add_i32 s4, s4, 2
	v_cmp_eq_u32_e64 s[6:7], 8, s4
	s_or_b64 s[2:3], s[6:7], s[2:3]
	v_add_u32_e32 v2, 0x800, v2
	s_andn2_b64 exec, exec, s[2:3]
	s_cbranch_execz .LBB10_130
.LBB10_126:                             ; =>This Inner Loop Header: Depth=1
	s_mov_b32 s5, s4
	s_or_b64 s[8:9], s[4:5], s[0:1]
	v_cmp_le_u32_e64 s[6:7], s9, 7
	v_cmp_le_u32_e64 s[10:11], s8, 7
	s_and_saveexec_b64 s[8:9], s[10:11]
; %bb.127:                              ;   in Loop: Header=BB10_126 Depth=1
	ds_write_b32 v2, v3
; %bb.128:                              ;   in Loop: Header=BB10_126 Depth=1
	s_or_b64 exec, exec, s[8:9]
	s_and_saveexec_b64 s[8:9], s[6:7]
	s_cbranch_execz .LBB10_125
; %bb.129:                              ;   in Loop: Header=BB10_126 Depth=1
	ds_write_b32 v2, v3 offset:1024
	s_branch .LBB10_125
.LBB10_130:
	s_or_b64 exec, exec, s[2:3]
	s_cmp_gt_u32 s45, s44
	s_cselect_b64 s[0:1], -1, 0
	s_cmp_le_u32 s45, s44
	s_waitcnt lgkmcnt(0)
	s_barrier
	s_cbranch_scc1 .LBB10_167
; %bb.131:
	v_and_b32_e32 v2, 3, v0
	v_lshlrev_b32_e32 v2, 2, v2
	s_sub_i32 s2, s45, s44
	s_waitcnt vmcnt(17)
	v_xor_b32_e32 v3, -1, v1
	v_mov_b32_e32 v22, 1
	s_mov_b32 s3, s2
	v_mov_b32_e32 v23, v2
	s_mov_b32 s4, s44
.LBB10_132:                             ; =>This Inner Loop Header: Depth=1
	s_min_u32 s5, s3, 8
	v_lshrrev_b32_sdwa v24, s4, v3 dst_sel:DWORD dst_unused:UNUSED_PAD src0_sel:DWORD src1_sel:WORD_0
	v_bfe_u32 v24, v24, 0, s5
	v_lshl_add_u32 v24, v24, 4, v23
	ds_add_u32 v24, v22
	s_add_i32 s4, s4, 8
	s_add_i32 s3, s3, -8
	s_cmp_ge_u32 s4, s45
	v_add_u32_e32 v23, 0x1000, v23
	s_cbranch_scc0 .LBB10_132
; %bb.133:
	s_waitcnt vmcnt(16)
	v_xor_b32_e32 v3, -1, v4
	v_mov_b32_e32 v22, 1
	s_mov_b32 s3, s2
	v_mov_b32_e32 v23, v2
	s_mov_b32 s4, s44
.LBB10_134:                             ; =>This Inner Loop Header: Depth=1
	s_min_u32 s5, s3, 8
	v_lshrrev_b32_sdwa v24, s4, v3 dst_sel:DWORD dst_unused:UNUSED_PAD src0_sel:DWORD src1_sel:WORD_0
	v_bfe_u32 v24, v24, 0, s5
	v_lshl_add_u32 v24, v24, 4, v23
	ds_add_u32 v24, v22
	s_add_i32 s4, s4, 8
	s_add_i32 s3, s3, -8
	s_cmp_lt_u32 s4, s45
	v_add_u32_e32 v23, 0x1000, v23
	s_cbranch_scc1 .LBB10_134
; %bb.135:
	s_waitcnt vmcnt(15)
	v_xor_b32_e32 v3, -1, v5
	v_mov_b32_e32 v22, 1
	s_mov_b32 s3, s2
	v_mov_b32_e32 v23, v2
	s_mov_b32 s4, s44
.LBB10_136:                             ; =>This Inner Loop Header: Depth=1
	s_min_u32 s5, s3, 8
	v_lshrrev_b32_sdwa v24, s4, v3 dst_sel:DWORD dst_unused:UNUSED_PAD src0_sel:DWORD src1_sel:WORD_0
	v_bfe_u32 v24, v24, 0, s5
	v_lshl_add_u32 v24, v24, 4, v23
	ds_add_u32 v24, v22
	s_add_i32 s4, s4, 8
	s_add_i32 s3, s3, -8
	s_cmp_lt_u32 s4, s45
	v_add_u32_e32 v23, 0x1000, v23
	s_cbranch_scc1 .LBB10_136
	;; [unrolled: 18-line block ×16, first 2 shown]
; %bb.165:
	s_waitcnt vmcnt(0)
	v_xor_b32_e32 v3, -1, v20
	v_mov_b32_e32 v22, 1
	s_mov_b32 s3, s44
.LBB10_166:                             ; =>This Inner Loop Header: Depth=1
	s_min_u32 s4, s2, 8
	v_lshrrev_b32_sdwa v23, s3, v3 dst_sel:DWORD dst_unused:UNUSED_PAD src0_sel:DWORD src1_sel:WORD_0
	v_bfe_u32 v23, v23, 0, s4
	v_lshl_add_u32 v23, v23, 4, v2
	ds_add_u32 v23, v22
	s_add_i32 s3, s3, 8
	s_add_i32 s2, s2, -8
	s_cmp_lt_u32 s3, s45
	v_add_u32_e32 v2, 0x1000, v2
	s_cbranch_scc1 .LBB10_166
.LBB10_167:
	s_and_b64 vcc, exec, s[0:1]
	s_waitcnt lgkmcnt(0)
	s_barrier
	s_cbranch_vccz .LBB10_172
; %bb.168:
	s_movk_i32 s0, 0x100
	v_cmp_gt_u32_e32 vcc, s0, v0
	v_lshlrev_b32_e32 v22, 4, v0
	v_mov_b32_e32 v3, 0
	v_mov_b32_e32 v2, v0
	s_branch .LBB10_170
.LBB10_169:                             ;   in Loop: Header=BB10_170 Depth=1
	s_or_b64 exec, exec, s[0:1]
	s_add_i32 s44, s44, 8
	v_add_u32_e32 v2, 0x100, v2
	s_cmp_ge_u32 s44, s45
	v_add_u32_e32 v22, 0x1000, v22
	s_cbranch_scc1 .LBB10_172
.LBB10_170:                             ; =>This Inner Loop Header: Depth=1
	s_and_saveexec_b64 s[0:1], vcc
	s_cbranch_execz .LBB10_169
; %bb.171:                              ;   in Loop: Header=BB10_170 Depth=1
	ds_read2_b32 v[24:25], v22 offset1:1
	ds_read2_b32 v[26:27], v22 offset0:2 offset1:3
	v_lshl_add_u64 v[28:29], v[2:3], 3, s[38:39]
	s_waitcnt lgkmcnt(1)
	v_add_u32_e32 v23, v25, v24
	s_waitcnt lgkmcnt(0)
	v_add3_u32 v24, v23, v26, v27
	v_mov_b32_e32 v25, v3
	global_atomic_add_x2 v[28:29], v[24:25], off
	s_branch .LBB10_169
.LBB10_172:
	s_mov_b64 s[2:3], 0
.LBB10_173:
	s_and_b64 vcc, exec, s[2:3]
	s_cbranch_vccz .LBB10_182
; %bb.174:
	s_mov_b32 s0, 0
	s_mov_b32 s1, 1
	s_mov_b64 s[2:3], 0
	v_mov_b32_e32 v2, 0
	s_mov_b32 s4, s0
	s_branch .LBB10_176
.LBB10_175:                             ;   in Loop: Header=BB10_176 Depth=1
	s_or_b64 exec, exec, s[8:9]
	s_add_i32 s4, s4, 2
	v_cmp_eq_u32_e64 s[6:7], 8, s4
	s_or_b64 s[2:3], s[6:7], s[2:3]
	v_add_u32_e32 v21, 0x800, v21
	s_andn2_b64 exec, exec, s[2:3]
	s_cbranch_execz .LBB10_180
.LBB10_176:                             ; =>This Inner Loop Header: Depth=1
	s_mov_b32 s5, s4
	s_or_b64 s[8:9], s[4:5], s[0:1]
	v_cmp_le_u32_e64 s[6:7], s9, 7
	v_cmp_le_u32_e64 s[10:11], s8, 7
	s_and_saveexec_b64 s[8:9], s[10:11]
; %bb.177:                              ;   in Loop: Header=BB10_176 Depth=1
	ds_write_b32 v21, v2
; %bb.178:                              ;   in Loop: Header=BB10_176 Depth=1
	s_or_b64 exec, exec, s[8:9]
	s_and_saveexec_b64 s[8:9], s[6:7]
	s_cbranch_execz .LBB10_175
; %bb.179:                              ;   in Loop: Header=BB10_176 Depth=1
	ds_write_b32 v21, v2 offset:1024
	s_branch .LBB10_175
.LBB10_180:
	s_or_b64 exec, exec, s[2:3]
	s_waitcnt vmcnt(17)
	v_xor_b32_e32 v1, -1, v1
	s_waitcnt vmcnt(15)
	v_xor_b32_e32 v3, -1, v5
	;; [unrolled: 2-line block ×9, first 2 shown]
	v_and_b32_e32 v19, 3, v0
	v_and_b32_e32 v1, 0xffff, v1
	v_xor_b32_e32 v2, -1, v4
	v_xor_b32_e32 v4, -1, v6
	;; [unrolled: 1-line block ×8, first 2 shown]
	s_waitcnt vmcnt(0)
	v_xor_b32_e32 v18, -1, v20
	v_lshlrev_b32_e32 v20, 4, v1
	v_lshlrev_b32_e32 v19, 2, v19
	s_movk_i32 s0, 0xff0
	v_and_or_b32 v20, v20, s0, v19
	v_mov_b32_e32 v21, 1
	v_bfe_u32 v1, v1, 8, 8
	s_waitcnt lgkmcnt(0)
	s_barrier
	ds_add_u32 v20, v21
	v_lshl_or_b32 v1, v1, 4, v19
	ds_add_u32 v1, v21 offset:4096
	v_and_b32_e32 v1, 0xffff, v2
	v_lshlrev_b32_e32 v2, 4, v1
	v_and_or_b32 v2, v2, s0, v19
	v_bfe_u32 v1, v1, 8, 8
	ds_add_u32 v2, v21
	v_lshl_or_b32 v1, v1, 4, v19
	ds_add_u32 v1, v21 offset:4096
	v_and_b32_e32 v1, 0xffff, v3
	v_lshlrev_b32_e32 v2, 4, v1
	v_and_or_b32 v2, v2, s0, v19
	v_bfe_u32 v1, v1, 8, 8
	;; [unrolled: 7-line block ×17, first 2 shown]
	ds_add_u32 v2, v21
	v_lshl_or_b32 v1, v1, 4, v19
	ds_add_u32 v1, v21 offset:4096
	s_movk_i32 s0, 0x100
	v_cmp_gt_u32_e32 vcc, s0, v0
	s_waitcnt lgkmcnt(0)
	s_barrier
	s_and_saveexec_b64 s[0:1], vcc
	s_cbranch_execz .LBB10_182
; %bb.181:
	v_lshlrev_b32_e32 v6, 4, v0
	ds_read2_b32 v[2:3], v6 offset1:1
	ds_read2_b32 v[4:5], v6 offset0:2 offset1:3
	v_lshlrev_b32_e32 v7, 3, v0
	v_mov_b32_e32 v1, 0
	v_or_b32_e32 v8, 0x1000, v6
	s_waitcnt lgkmcnt(1)
	v_add_u32_e32 v0, v3, v2
	s_waitcnt lgkmcnt(0)
	v_add3_u32 v0, v0, v4, v5
	global_atomic_add_x2 v7, v[0:1], s[38:39]
	v_or_b32_e32 v0, 0x1008, v6
	ds_read2_b32 v[2:3], v8 offset1:1
	ds_read2_b32 v[4:5], v0 offset1:1
	s_waitcnt lgkmcnt(1)
	v_add_u32_e32 v0, v3, v2
	s_waitcnt lgkmcnt(0)
	v_add3_u32 v0, v0, v4, v5
	global_atomic_add_x2 v7, v[0:1], s[38:39] offset:2048
.LBB10_182:
	s_endpgm
	.section	.rodata,"a",@progbits
	.p2align	6, 0x0
	.amdhsa_kernel _ZN7rocprim17ROCPRIM_304000_NS6detail26onesweep_histograms_kernelINS1_34wrapped_radix_sort_onesweep_configINS0_14default_configEtN2at4cuda3cub6detail10OpaqueTypeILi8EEEEELb1EPKtmNS0_19identity_decomposerEEEvT1_PT2_SG_SG_T3_jj
		.amdhsa_group_segment_fixed_size 8192
		.amdhsa_private_segment_fixed_size 0
		.amdhsa_kernarg_size 44
		.amdhsa_user_sgpr_count 2
		.amdhsa_user_sgpr_dispatch_ptr 0
		.amdhsa_user_sgpr_queue_ptr 0
		.amdhsa_user_sgpr_kernarg_segment_ptr 1
		.amdhsa_user_sgpr_dispatch_id 0
		.amdhsa_user_sgpr_kernarg_preload_length 0
		.amdhsa_user_sgpr_kernarg_preload_offset 0
		.amdhsa_user_sgpr_private_segment_size 0
		.amdhsa_uses_dynamic_stack 0
		.amdhsa_enable_private_segment 0
		.amdhsa_system_sgpr_workgroup_id_x 1
		.amdhsa_system_sgpr_workgroup_id_y 0
		.amdhsa_system_sgpr_workgroup_id_z 0
		.amdhsa_system_sgpr_workgroup_info 0
		.amdhsa_system_vgpr_workitem_id 0
		.amdhsa_next_free_vgpr 30
		.amdhsa_next_free_sgpr 56
		.amdhsa_accum_offset 32
		.amdhsa_reserve_vcc 1
		.amdhsa_float_round_mode_32 0
		.amdhsa_float_round_mode_16_64 0
		.amdhsa_float_denorm_mode_32 3
		.amdhsa_float_denorm_mode_16_64 3
		.amdhsa_dx10_clamp 1
		.amdhsa_ieee_mode 1
		.amdhsa_fp16_overflow 0
		.amdhsa_tg_split 0
		.amdhsa_exception_fp_ieee_invalid_op 0
		.amdhsa_exception_fp_denorm_src 0
		.amdhsa_exception_fp_ieee_div_zero 0
		.amdhsa_exception_fp_ieee_overflow 0
		.amdhsa_exception_fp_ieee_underflow 0
		.amdhsa_exception_fp_ieee_inexact 0
		.amdhsa_exception_int_div_zero 0
	.end_amdhsa_kernel
	.section	.text._ZN7rocprim17ROCPRIM_304000_NS6detail26onesweep_histograms_kernelINS1_34wrapped_radix_sort_onesweep_configINS0_14default_configEtN2at4cuda3cub6detail10OpaqueTypeILi8EEEEELb1EPKtmNS0_19identity_decomposerEEEvT1_PT2_SG_SG_T3_jj,"axG",@progbits,_ZN7rocprim17ROCPRIM_304000_NS6detail26onesweep_histograms_kernelINS1_34wrapped_radix_sort_onesweep_configINS0_14default_configEtN2at4cuda3cub6detail10OpaqueTypeILi8EEEEELb1EPKtmNS0_19identity_decomposerEEEvT1_PT2_SG_SG_T3_jj,comdat
.Lfunc_end10:
	.size	_ZN7rocprim17ROCPRIM_304000_NS6detail26onesweep_histograms_kernelINS1_34wrapped_radix_sort_onesweep_configINS0_14default_configEtN2at4cuda3cub6detail10OpaqueTypeILi8EEEEELb1EPKtmNS0_19identity_decomposerEEEvT1_PT2_SG_SG_T3_jj, .Lfunc_end10-_ZN7rocprim17ROCPRIM_304000_NS6detail26onesweep_histograms_kernelINS1_34wrapped_radix_sort_onesweep_configINS0_14default_configEtN2at4cuda3cub6detail10OpaqueTypeILi8EEEEELb1EPKtmNS0_19identity_decomposerEEEvT1_PT2_SG_SG_T3_jj
                                        ; -- End function
	.set _ZN7rocprim17ROCPRIM_304000_NS6detail26onesweep_histograms_kernelINS1_34wrapped_radix_sort_onesweep_configINS0_14default_configEtN2at4cuda3cub6detail10OpaqueTypeILi8EEEEELb1EPKtmNS0_19identity_decomposerEEEvT1_PT2_SG_SG_T3_jj.num_vgpr, 30
	.set _ZN7rocprim17ROCPRIM_304000_NS6detail26onesweep_histograms_kernelINS1_34wrapped_radix_sort_onesweep_configINS0_14default_configEtN2at4cuda3cub6detail10OpaqueTypeILi8EEEEELb1EPKtmNS0_19identity_decomposerEEEvT1_PT2_SG_SG_T3_jj.num_agpr, 0
	.set _ZN7rocprim17ROCPRIM_304000_NS6detail26onesweep_histograms_kernelINS1_34wrapped_radix_sort_onesweep_configINS0_14default_configEtN2at4cuda3cub6detail10OpaqueTypeILi8EEEEELb1EPKtmNS0_19identity_decomposerEEEvT1_PT2_SG_SG_T3_jj.numbered_sgpr, 56
	.set _ZN7rocprim17ROCPRIM_304000_NS6detail26onesweep_histograms_kernelINS1_34wrapped_radix_sort_onesweep_configINS0_14default_configEtN2at4cuda3cub6detail10OpaqueTypeILi8EEEEELb1EPKtmNS0_19identity_decomposerEEEvT1_PT2_SG_SG_T3_jj.num_named_barrier, 0
	.set _ZN7rocprim17ROCPRIM_304000_NS6detail26onesweep_histograms_kernelINS1_34wrapped_radix_sort_onesweep_configINS0_14default_configEtN2at4cuda3cub6detail10OpaqueTypeILi8EEEEELb1EPKtmNS0_19identity_decomposerEEEvT1_PT2_SG_SG_T3_jj.private_seg_size, 0
	.set _ZN7rocprim17ROCPRIM_304000_NS6detail26onesweep_histograms_kernelINS1_34wrapped_radix_sort_onesweep_configINS0_14default_configEtN2at4cuda3cub6detail10OpaqueTypeILi8EEEEELb1EPKtmNS0_19identity_decomposerEEEvT1_PT2_SG_SG_T3_jj.uses_vcc, 1
	.set _ZN7rocprim17ROCPRIM_304000_NS6detail26onesweep_histograms_kernelINS1_34wrapped_radix_sort_onesweep_configINS0_14default_configEtN2at4cuda3cub6detail10OpaqueTypeILi8EEEEELb1EPKtmNS0_19identity_decomposerEEEvT1_PT2_SG_SG_T3_jj.uses_flat_scratch, 0
	.set _ZN7rocprim17ROCPRIM_304000_NS6detail26onesweep_histograms_kernelINS1_34wrapped_radix_sort_onesweep_configINS0_14default_configEtN2at4cuda3cub6detail10OpaqueTypeILi8EEEEELb1EPKtmNS0_19identity_decomposerEEEvT1_PT2_SG_SG_T3_jj.has_dyn_sized_stack, 0
	.set _ZN7rocprim17ROCPRIM_304000_NS6detail26onesweep_histograms_kernelINS1_34wrapped_radix_sort_onesweep_configINS0_14default_configEtN2at4cuda3cub6detail10OpaqueTypeILi8EEEEELb1EPKtmNS0_19identity_decomposerEEEvT1_PT2_SG_SG_T3_jj.has_recursion, 0
	.set _ZN7rocprim17ROCPRIM_304000_NS6detail26onesweep_histograms_kernelINS1_34wrapped_radix_sort_onesweep_configINS0_14default_configEtN2at4cuda3cub6detail10OpaqueTypeILi8EEEEELb1EPKtmNS0_19identity_decomposerEEEvT1_PT2_SG_SG_T3_jj.has_indirect_call, 0
	.section	.AMDGPU.csdata,"",@progbits
; Kernel info:
; codeLenInByte = 6584
; TotalNumSgprs: 62
; NumVgprs: 30
; NumAgprs: 0
; TotalNumVgprs: 30
; ScratchSize: 0
; MemoryBound: 0
; FloatMode: 240
; IeeeMode: 1
; LDSByteSize: 8192 bytes/workgroup (compile time only)
; SGPRBlocks: 7
; VGPRBlocks: 3
; NumSGPRsForWavesPerEU: 62
; NumVGPRsForWavesPerEU: 30
; AccumOffset: 32
; Occupancy: 8
; WaveLimiterHint : 1
; COMPUTE_PGM_RSRC2:SCRATCH_EN: 0
; COMPUTE_PGM_RSRC2:USER_SGPR: 2
; COMPUTE_PGM_RSRC2:TRAP_HANDLER: 0
; COMPUTE_PGM_RSRC2:TGID_X_EN: 1
; COMPUTE_PGM_RSRC2:TGID_Y_EN: 0
; COMPUTE_PGM_RSRC2:TGID_Z_EN: 0
; COMPUTE_PGM_RSRC2:TIDIG_COMP_CNT: 0
; COMPUTE_PGM_RSRC3_GFX90A:ACCUM_OFFSET: 7
; COMPUTE_PGM_RSRC3_GFX90A:TG_SPLIT: 0
	.section	.text._ZN7rocprim17ROCPRIM_304000_NS6detail31onesweep_scan_histograms_kernelINS1_34wrapped_radix_sort_onesweep_configINS0_14default_configEtN2at4cuda3cub6detail10OpaqueTypeILi8EEEEEmEEvPT0_,"axG",@progbits,_ZN7rocprim17ROCPRIM_304000_NS6detail31onesweep_scan_histograms_kernelINS1_34wrapped_radix_sort_onesweep_configINS0_14default_configEtN2at4cuda3cub6detail10OpaqueTypeILi8EEEEEmEEvPT0_,comdat
	.protected	_ZN7rocprim17ROCPRIM_304000_NS6detail31onesweep_scan_histograms_kernelINS1_34wrapped_radix_sort_onesweep_configINS0_14default_configEtN2at4cuda3cub6detail10OpaqueTypeILi8EEEEEmEEvPT0_ ; -- Begin function _ZN7rocprim17ROCPRIM_304000_NS6detail31onesweep_scan_histograms_kernelINS1_34wrapped_radix_sort_onesweep_configINS0_14default_configEtN2at4cuda3cub6detail10OpaqueTypeILi8EEEEEmEEvPT0_
	.globl	_ZN7rocprim17ROCPRIM_304000_NS6detail31onesweep_scan_histograms_kernelINS1_34wrapped_radix_sort_onesweep_configINS0_14default_configEtN2at4cuda3cub6detail10OpaqueTypeILi8EEEEEmEEvPT0_
	.p2align	8
	.type	_ZN7rocprim17ROCPRIM_304000_NS6detail31onesweep_scan_histograms_kernelINS1_34wrapped_radix_sort_onesweep_configINS0_14default_configEtN2at4cuda3cub6detail10OpaqueTypeILi8EEEEEmEEvPT0_,@function
_ZN7rocprim17ROCPRIM_304000_NS6detail31onesweep_scan_histograms_kernelINS1_34wrapped_radix_sort_onesweep_configINS0_14default_configEtN2at4cuda3cub6detail10OpaqueTypeILi8EEEEEmEEvPT0_: ; @_ZN7rocprim17ROCPRIM_304000_NS6detail31onesweep_scan_histograms_kernelINS1_34wrapped_radix_sort_onesweep_configINS0_14default_configEtN2at4cuda3cub6detail10OpaqueTypeILi8EEEEEmEEvPT0_
; %bb.0:
	s_load_dwordx2 s[0:1], s[0:1], 0x0
	s_lshl_b32 s2, s2, 8
	s_mov_b32 s3, 0
	s_lshl_b64 s[2:3], s[2:3], 3
	v_lshlrev_b32_e32 v8, 3, v0
	s_waitcnt lgkmcnt(0)
	s_add_u32 s6, s0, s2
	s_movk_i32 s0, 0x100
	s_addc_u32 s7, s1, s3
	v_cmp_gt_u32_e32 vcc, s0, v0
                                        ; implicit-def: $vgpr2_vgpr3
	s_and_saveexec_b64 s[0:1], vcc
	s_cbranch_execz .LBB11_2
; %bb.1:
	global_load_dwordx2 v[2:3], v8, s[6:7]
.LBB11_2:
	s_or_b64 exec, exec, s[0:1]
	v_mbcnt_lo_u32_b32 v1, -1, 0
	v_mov_b32_e32 v6, 0
	v_mbcnt_hi_u32_b32 v9, -1, v1
	s_waitcnt vmcnt(0)
	v_mov_b32_dpp v4, v2 row_shr:1 row_mask:0xf bank_mask:0xf
	v_mov_b32_e32 v5, v6
	v_and_b32_e32 v1, 15, v9
	v_mov_b32_dpp v7, v3 row_shr:1 row_mask:0xf bank_mask:0xf
	v_lshl_add_u64 v[4:5], v[2:3], 0, v[4:5]
	v_lshl_add_u64 v[6:7], v[6:7], 0, v[4:5]
	v_cmp_eq_u32_e64 s[0:1], 0, v1
	v_cmp_ne_u32_e64 s[4:5], 0, v9
	s_nop 0
	v_cndmask_b32_e64 v10, v4, v2, s[0:1]
	v_cndmask_b32_e64 v5, v7, v3, s[0:1]
	v_cndmask_b32_e64 v4, v6, v2, s[0:1]
	v_mov_b32_dpp v6, v10 row_shr:2 row_mask:0xf bank_mask:0xf
	v_mov_b32_dpp v7, v5 row_shr:2 row_mask:0xf bank_mask:0xf
	v_lshl_add_u64 v[6:7], v[6:7], 0, v[4:5]
	v_cmp_lt_u32_e64 s[0:1], 1, v1
	s_nop 1
	v_cndmask_b32_e64 v10, v10, v6, s[0:1]
	v_cndmask_b32_e64 v5, v5, v7, s[0:1]
	v_cndmask_b32_e64 v4, v4, v6, s[0:1]
	v_mov_b32_dpp v6, v10 row_shr:4 row_mask:0xf bank_mask:0xf
	v_mov_b32_dpp v7, v5 row_shr:4 row_mask:0xf bank_mask:0xf
	v_lshl_add_u64 v[6:7], v[6:7], 0, v[4:5]
	v_cmp_lt_u32_e64 s[0:1], 3, v1
	;; [unrolled: 8-line block ×3, first 2 shown]
	s_nop 1
	v_cndmask_b32_e64 v1, v10, v6, s[0:1]
	v_cndmask_b32_e64 v5, v5, v7, s[0:1]
	v_cndmask_b32_e64 v4, v4, v6, s[0:1]
	v_mov_b32_dpp v6, v1 row_bcast:15 row_mask:0xf bank_mask:0xf
	v_mov_b32_dpp v7, v5 row_bcast:15 row_mask:0xf bank_mask:0xf
	v_and_b32_e32 v10, 16, v9
	v_lshl_add_u64 v[6:7], v[6:7], 0, v[4:5]
	v_cmp_eq_u32_e64 s[2:3], 0, v10
	v_cmp_eq_u32_e64 s[0:1], 0, v9
	s_nop 0
	v_cndmask_b32_e64 v10, v7, v5, s[2:3]
	v_cndmask_b32_e64 v1, v6, v1, s[2:3]
	s_nop 0
	v_mov_b32_dpp v10, v10 row_bcast:31 row_mask:0xf bank_mask:0xf
	v_mov_b32_dpp v1, v1 row_bcast:31 row_mask:0xf bank_mask:0xf
	s_and_saveexec_b64 s[8:9], s[4:5]
; %bb.3:
	v_cndmask_b32_e64 v3, v7, v5, s[2:3]
	v_cndmask_b32_e64 v2, v6, v4, s[2:3]
	v_cmp_lt_u32_e64 s[2:3], 31, v9
	s_nop 1
	v_cndmask_b32_e64 v5, 0, v10, s[2:3]
	v_cndmask_b32_e64 v4, 0, v1, s[2:3]
	v_lshl_add_u64 v[2:3], v[4:5], 0, v[2:3]
; %bb.4:
	s_or_b64 exec, exec, s[8:9]
	v_or_b32_e32 v1, 63, v0
	v_lshrrev_b32_e32 v4, 6, v0
	v_cmp_eq_u32_e64 s[2:3], v0, v1
	s_and_saveexec_b64 s[4:5], s[2:3]
; %bb.5:
	v_lshlrev_b32_e32 v1, 3, v4
	ds_write_b64 v1, v[2:3]
; %bb.6:
	s_or_b64 exec, exec, s[4:5]
	v_cmp_gt_u32_e64 s[2:3], 4, v0
	s_waitcnt lgkmcnt(0)
	s_barrier
	s_and_saveexec_b64 s[4:5], s[2:3]
	s_cbranch_execz .LBB11_8
; %bb.7:
	ds_read_b64 v[6:7], v8
	v_mov_b32_e32 v10, 0
	v_mov_b32_e32 v13, v10
	v_and_b32_e32 v1, 3, v9
	v_cmp_eq_u32_e64 s[2:3], 0, v1
	s_waitcnt lgkmcnt(0)
	v_mov_b32_dpp v12, v6 row_shr:1 row_mask:0xf bank_mask:0xf
	v_mov_b32_dpp v11, v7 row_shr:1 row_mask:0xf bank_mask:0xf
	v_lshl_add_u64 v[12:13], v[6:7], 0, v[12:13]
	v_lshl_add_u64 v[10:11], v[10:11], 0, v[12:13]
	v_cndmask_b32_e64 v11, v11, v7, s[2:3]
	v_cndmask_b32_e64 v5, v12, v6, s[2:3]
	;; [unrolled: 1-line block ×3, first 2 shown]
	v_mov_b32_dpp v7, v11 row_shr:2 row_mask:0xf bank_mask:0xf
	v_mov_b32_dpp v5, v5 row_shr:2 row_mask:0xf bank_mask:0xf
	v_cmp_lt_u32_e64 s[2:3], 1, v1
	s_nop 1
	v_cndmask_b32_e64 v6, 0, v5, s[2:3]
	v_cndmask_b32_e64 v7, 0, v7, s[2:3]
	v_lshl_add_u64 v[6:7], v[6:7], 0, v[10:11]
	ds_write_b64 v8, v[6:7]
.LBB11_8:
	s_or_b64 exec, exec, s[4:5]
	v_cmp_lt_u32_e64 s[2:3], 63, v0
	v_mov_b64_e32 v[0:1], 0
	s_waitcnt lgkmcnt(0)
	s_barrier
	s_and_saveexec_b64 s[4:5], s[2:3]
; %bb.9:
	v_lshl_add_u32 v0, v4, 3, -8
	ds_read_b64 v[0:1], v0
; %bb.10:
	s_or_b64 exec, exec, s[4:5]
	v_add_u32_e32 v4, -1, v9
	v_and_b32_e32 v5, 64, v9
	v_cmp_lt_i32_e64 s[2:3], v4, v5
	s_waitcnt lgkmcnt(0)
	v_lshl_add_u64 v[2:3], v[0:1], 0, v[2:3]
	v_cndmask_b32_e64 v4, v4, v9, s[2:3]
	v_lshlrev_b32_e32 v4, 2, v4
	ds_bpermute_b32 v2, v4, v2
	ds_bpermute_b32 v3, v4, v3
	s_and_saveexec_b64 s[2:3], vcc
	s_cbranch_execz .LBB11_12
; %bb.11:
	s_waitcnt lgkmcnt(0)
	v_cndmask_b32_e64 v1, v3, v1, s[0:1]
	v_cndmask_b32_e64 v0, v2, v0, s[0:1]
	global_store_dwordx2 v8, v[0:1], s[6:7]
.LBB11_12:
	s_endpgm
	.section	.rodata,"a",@progbits
	.p2align	6, 0x0
	.amdhsa_kernel _ZN7rocprim17ROCPRIM_304000_NS6detail31onesweep_scan_histograms_kernelINS1_34wrapped_radix_sort_onesweep_configINS0_14default_configEtN2at4cuda3cub6detail10OpaqueTypeILi8EEEEEmEEvPT0_
		.amdhsa_group_segment_fixed_size 32
		.amdhsa_private_segment_fixed_size 0
		.amdhsa_kernarg_size 8
		.amdhsa_user_sgpr_count 2
		.amdhsa_user_sgpr_dispatch_ptr 0
		.amdhsa_user_sgpr_queue_ptr 0
		.amdhsa_user_sgpr_kernarg_segment_ptr 1
		.amdhsa_user_sgpr_dispatch_id 0
		.amdhsa_user_sgpr_kernarg_preload_length 0
		.amdhsa_user_sgpr_kernarg_preload_offset 0
		.amdhsa_user_sgpr_private_segment_size 0
		.amdhsa_uses_dynamic_stack 0
		.amdhsa_enable_private_segment 0
		.amdhsa_system_sgpr_workgroup_id_x 1
		.amdhsa_system_sgpr_workgroup_id_y 0
		.amdhsa_system_sgpr_workgroup_id_z 0
		.amdhsa_system_sgpr_workgroup_info 0
		.amdhsa_system_vgpr_workitem_id 0
		.amdhsa_next_free_vgpr 14
		.amdhsa_next_free_sgpr 10
		.amdhsa_accum_offset 16
		.amdhsa_reserve_vcc 1
		.amdhsa_float_round_mode_32 0
		.amdhsa_float_round_mode_16_64 0
		.amdhsa_float_denorm_mode_32 3
		.amdhsa_float_denorm_mode_16_64 3
		.amdhsa_dx10_clamp 1
		.amdhsa_ieee_mode 1
		.amdhsa_fp16_overflow 0
		.amdhsa_tg_split 0
		.amdhsa_exception_fp_ieee_invalid_op 0
		.amdhsa_exception_fp_denorm_src 0
		.amdhsa_exception_fp_ieee_div_zero 0
		.amdhsa_exception_fp_ieee_overflow 0
		.amdhsa_exception_fp_ieee_underflow 0
		.amdhsa_exception_fp_ieee_inexact 0
		.amdhsa_exception_int_div_zero 0
	.end_amdhsa_kernel
	.section	.text._ZN7rocprim17ROCPRIM_304000_NS6detail31onesweep_scan_histograms_kernelINS1_34wrapped_radix_sort_onesweep_configINS0_14default_configEtN2at4cuda3cub6detail10OpaqueTypeILi8EEEEEmEEvPT0_,"axG",@progbits,_ZN7rocprim17ROCPRIM_304000_NS6detail31onesweep_scan_histograms_kernelINS1_34wrapped_radix_sort_onesweep_configINS0_14default_configEtN2at4cuda3cub6detail10OpaqueTypeILi8EEEEEmEEvPT0_,comdat
.Lfunc_end11:
	.size	_ZN7rocprim17ROCPRIM_304000_NS6detail31onesweep_scan_histograms_kernelINS1_34wrapped_radix_sort_onesweep_configINS0_14default_configEtN2at4cuda3cub6detail10OpaqueTypeILi8EEEEEmEEvPT0_, .Lfunc_end11-_ZN7rocprim17ROCPRIM_304000_NS6detail31onesweep_scan_histograms_kernelINS1_34wrapped_radix_sort_onesweep_configINS0_14default_configEtN2at4cuda3cub6detail10OpaqueTypeILi8EEEEEmEEvPT0_
                                        ; -- End function
	.set _ZN7rocprim17ROCPRIM_304000_NS6detail31onesweep_scan_histograms_kernelINS1_34wrapped_radix_sort_onesweep_configINS0_14default_configEtN2at4cuda3cub6detail10OpaqueTypeILi8EEEEEmEEvPT0_.num_vgpr, 14
	.set _ZN7rocprim17ROCPRIM_304000_NS6detail31onesweep_scan_histograms_kernelINS1_34wrapped_radix_sort_onesweep_configINS0_14default_configEtN2at4cuda3cub6detail10OpaqueTypeILi8EEEEEmEEvPT0_.num_agpr, 0
	.set _ZN7rocprim17ROCPRIM_304000_NS6detail31onesweep_scan_histograms_kernelINS1_34wrapped_radix_sort_onesweep_configINS0_14default_configEtN2at4cuda3cub6detail10OpaqueTypeILi8EEEEEmEEvPT0_.numbered_sgpr, 10
	.set _ZN7rocprim17ROCPRIM_304000_NS6detail31onesweep_scan_histograms_kernelINS1_34wrapped_radix_sort_onesweep_configINS0_14default_configEtN2at4cuda3cub6detail10OpaqueTypeILi8EEEEEmEEvPT0_.num_named_barrier, 0
	.set _ZN7rocprim17ROCPRIM_304000_NS6detail31onesweep_scan_histograms_kernelINS1_34wrapped_radix_sort_onesweep_configINS0_14default_configEtN2at4cuda3cub6detail10OpaqueTypeILi8EEEEEmEEvPT0_.private_seg_size, 0
	.set _ZN7rocprim17ROCPRIM_304000_NS6detail31onesweep_scan_histograms_kernelINS1_34wrapped_radix_sort_onesweep_configINS0_14default_configEtN2at4cuda3cub6detail10OpaqueTypeILi8EEEEEmEEvPT0_.uses_vcc, 1
	.set _ZN7rocprim17ROCPRIM_304000_NS6detail31onesweep_scan_histograms_kernelINS1_34wrapped_radix_sort_onesweep_configINS0_14default_configEtN2at4cuda3cub6detail10OpaqueTypeILi8EEEEEmEEvPT0_.uses_flat_scratch, 0
	.set _ZN7rocprim17ROCPRIM_304000_NS6detail31onesweep_scan_histograms_kernelINS1_34wrapped_radix_sort_onesweep_configINS0_14default_configEtN2at4cuda3cub6detail10OpaqueTypeILi8EEEEEmEEvPT0_.has_dyn_sized_stack, 0
	.set _ZN7rocprim17ROCPRIM_304000_NS6detail31onesweep_scan_histograms_kernelINS1_34wrapped_radix_sort_onesweep_configINS0_14default_configEtN2at4cuda3cub6detail10OpaqueTypeILi8EEEEEmEEvPT0_.has_recursion, 0
	.set _ZN7rocprim17ROCPRIM_304000_NS6detail31onesweep_scan_histograms_kernelINS1_34wrapped_radix_sort_onesweep_configINS0_14default_configEtN2at4cuda3cub6detail10OpaqueTypeILi8EEEEEmEEvPT0_.has_indirect_call, 0
	.section	.AMDGPU.csdata,"",@progbits
; Kernel info:
; codeLenInByte = 848
; TotalNumSgprs: 16
; NumVgprs: 14
; NumAgprs: 0
; TotalNumVgprs: 14
; ScratchSize: 0
; MemoryBound: 0
; FloatMode: 240
; IeeeMode: 1
; LDSByteSize: 32 bytes/workgroup (compile time only)
; SGPRBlocks: 1
; VGPRBlocks: 1
; NumSGPRsForWavesPerEU: 16
; NumVGPRsForWavesPerEU: 14
; AccumOffset: 16
; Occupancy: 8
; WaveLimiterHint : 0
; COMPUTE_PGM_RSRC2:SCRATCH_EN: 0
; COMPUTE_PGM_RSRC2:USER_SGPR: 2
; COMPUTE_PGM_RSRC2:TRAP_HANDLER: 0
; COMPUTE_PGM_RSRC2:TGID_X_EN: 1
; COMPUTE_PGM_RSRC2:TGID_Y_EN: 0
; COMPUTE_PGM_RSRC2:TGID_Z_EN: 0
; COMPUTE_PGM_RSRC2:TIDIG_COMP_CNT: 0
; COMPUTE_PGM_RSRC3_GFX90A:ACCUM_OFFSET: 3
; COMPUTE_PGM_RSRC3_GFX90A:TG_SPLIT: 0
	.section	.text._ZN7rocprim17ROCPRIM_304000_NS6detail16transform_kernelINS1_24wrapped_transform_configINS0_14default_configEtEEtPKtPtNS0_8identityItEEEEvT1_mT2_T3_,"axG",@progbits,_ZN7rocprim17ROCPRIM_304000_NS6detail16transform_kernelINS1_24wrapped_transform_configINS0_14default_configEtEEtPKtPtNS0_8identityItEEEEvT1_mT2_T3_,comdat
	.protected	_ZN7rocprim17ROCPRIM_304000_NS6detail16transform_kernelINS1_24wrapped_transform_configINS0_14default_configEtEEtPKtPtNS0_8identityItEEEEvT1_mT2_T3_ ; -- Begin function _ZN7rocprim17ROCPRIM_304000_NS6detail16transform_kernelINS1_24wrapped_transform_configINS0_14default_configEtEEtPKtPtNS0_8identityItEEEEvT1_mT2_T3_
	.globl	_ZN7rocprim17ROCPRIM_304000_NS6detail16transform_kernelINS1_24wrapped_transform_configINS0_14default_configEtEEtPKtPtNS0_8identityItEEEEvT1_mT2_T3_
	.p2align	8
	.type	_ZN7rocprim17ROCPRIM_304000_NS6detail16transform_kernelINS1_24wrapped_transform_configINS0_14default_configEtEEtPKtPtNS0_8identityItEEEEvT1_mT2_T3_,@function
_ZN7rocprim17ROCPRIM_304000_NS6detail16transform_kernelINS1_24wrapped_transform_configINS0_14default_configEtEEtPKtPtNS0_8identityItEEEEvT1_mT2_T3_: ; @_ZN7rocprim17ROCPRIM_304000_NS6detail16transform_kernelINS1_24wrapped_transform_configINS0_14default_configEtEEtPKtPtNS0_8identityItEEEEvT1_mT2_T3_
; %bb.0:
	s_load_dword s3, s[0:1], 0x20
	s_load_dwordx4 s[4:7], s[0:1], 0x0
	s_load_dwordx2 s[8:9], s[0:1], 0x10
	s_lshl_b32 s0, s2, 9
	s_mov_b32 s1, 0
	s_waitcnt lgkmcnt(0)
	s_add_i32 s3, s3, -1
	s_lshl_b64 s[10:11], s[0:1], 1
	s_add_u32 s4, s4, s10
	s_addc_u32 s5, s5, s11
	v_mov_b32_e32 v3, 0
	v_lshlrev_b32_e32 v2, 1, v0
	s_cmp_lg_u32 s2, s3
	v_lshl_add_u64 v[6:7], s[4:5], 0, v[2:3]
	s_cbranch_scc0 .LBB12_2
; %bb.1:
	global_load_ushort v3, v[6:7], off
	global_load_ushort v4, v[6:7], off offset:256
	global_load_ushort v5, v[6:7], off offset:512
	;; [unrolled: 1-line block ×3, first 2 shown]
	s_add_u32 s4, s8, s10
	s_addc_u32 s5, s9, s11
	s_mov_b64 s[12:13], -1
	s_waitcnt vmcnt(3)
	global_store_short v2, v3, s[4:5]
	s_waitcnt vmcnt(3)
	global_store_short v2, v4, s[4:5] offset:256
	s_waitcnt vmcnt(3)
	global_store_short v2, v5, s[4:5] offset:512
	s_cbranch_execz .LBB12_3
	s_branch .LBB12_17
.LBB12_2:
	s_mov_b64 s[12:13], 0
                                        ; implicit-def: $vgpr1
.LBB12_3:
	s_sub_i32 s6, s6, s0
	v_mov_b32_e32 v4, 0
	v_cmp_gt_u32_e32 vcc, s6, v0
	v_mov_b32_e32 v5, v4
	s_and_saveexec_b64 s[0:1], vcc
	s_cbranch_execz .LBB12_5
; %bb.4:
	global_load_ushort v1, v[6:7], off
	v_mov_b32_e32 v9, v4
	s_waitcnt vmcnt(0)
	v_and_b32_e32 v8, 0xffff, v1
	v_mov_b64_e32 v[4:5], v[8:9]
.LBB12_5:
	s_or_b64 exec, exec, s[0:1]
	s_waitcnt vmcnt(3)
	v_or_b32_e32 v1, 0x80, v0
	v_cmp_gt_u32_e64 s[0:1], s6, v1
	s_and_saveexec_b64 s[2:3], s[0:1]
	s_cbranch_execz .LBB12_7
; %bb.6:
	global_load_ushort v1, v[6:7], off offset:256
	s_mov_b32 s4, 0x5040100
	s_waitcnt vmcnt(0)
	v_perm_b32 v4, v1, v4, s4
.LBB12_7:
	s_or_b64 exec, exec, s[2:3]
	v_or_b32_e32 v1, 0x100, v0
	v_cmp_gt_u32_e64 s[2:3], s6, v1
	s_and_saveexec_b64 s[4:5], s[2:3]
	s_cbranch_execz .LBB12_9
; %bb.8:
	global_load_ushort v1, v[6:7], off offset:512
	s_mov_b32 s7, 0xffff
	s_waitcnt vmcnt(0)
	v_bfi_b32 v5, s7, v1, v5
.LBB12_9:
	s_or_b64 exec, exec, s[4:5]
	v_or_b32_e32 v0, 0x180, v0
	v_cmp_gt_u32_e64 s[4:5], s6, v0
	s_and_saveexec_b64 s[6:7], s[4:5]
	s_cbranch_execz .LBB12_11
; %bb.10:
	global_load_ushort v0, v[6:7], off offset:768
	s_mov_b32 s14, 0x5040100
	s_waitcnt vmcnt(0)
	v_perm_b32 v5, v0, v5, s14
.LBB12_11:
	s_or_b64 exec, exec, s[6:7]
	s_add_u32 s6, s8, s10
	v_mov_b32_e32 v3, 0
	s_addc_u32 s7, s9, s11
	v_cndmask_b32_sdwa v6, v3, v4, vcc dst_sel:DWORD dst_unused:UNUSED_PAD src0_sel:DWORD src1_sel:WORD_0
	v_lshl_add_u64 v[0:1], s[6:7], 0, v[2:3]
	s_and_saveexec_b64 s[6:7], vcc
	s_cbranch_execnz .LBB12_20
; %bb.12:
	s_or_b64 exec, exec, s[6:7]
	v_cndmask_b32_e64 v3, v6, v4, s[0:1]
	s_and_saveexec_b64 s[6:7], s[0:1]
	s_cbranch_execnz .LBB12_21
.LBB12_13:
	s_or_b64 exec, exec, s[6:7]
	s_and_saveexec_b64 s[0:1], s[2:3]
	s_cbranch_execnz .LBB12_22
.LBB12_14:
	s_or_b64 exec, exec, s[0:1]
                                        ; implicit-def: $vgpr1
	s_and_saveexec_b64 s[0:1], s[4:5]
.LBB12_15:
	v_cndmask_b32_e64 v0, 0, v5, s[4:5]
	v_lshrrev_b32_e32 v1, 16, v0
	s_or_b64 s[12:13], s[12:13], exec
.LBB12_16:
	s_or_b64 exec, exec, s[0:1]
.LBB12_17:
	s_and_saveexec_b64 s[0:1], s[12:13]
	s_cbranch_execnz .LBB12_19
; %bb.18:
	s_endpgm
.LBB12_19:
	s_add_u32 s0, s8, s10
	s_addc_u32 s1, s9, s11
	s_waitcnt vmcnt(3)
	global_store_short v2, v1, s[0:1] offset:768
	s_endpgm
.LBB12_20:
	global_store_short v[0:1], v6, off
	s_or_b64 exec, exec, s[6:7]
	v_cndmask_b32_e64 v3, v6, v4, s[0:1]
	s_and_saveexec_b64 s[6:7], s[0:1]
	s_cbranch_execz .LBB12_13
.LBB12_21:
	global_store_short_d16_hi v[0:1], v3, off offset:256
	s_or_b64 exec, exec, s[6:7]
	s_and_saveexec_b64 s[0:1], s[2:3]
	s_cbranch_execz .LBB12_14
.LBB12_22:
	v_cndmask_b32_e64 v3, 0, v5, s[2:3]
	global_store_short v[0:1], v3, off offset:512
	s_or_b64 exec, exec, s[0:1]
                                        ; implicit-def: $vgpr1
	s_and_saveexec_b64 s[0:1], s[4:5]
	s_cbranch_execnz .LBB12_15
	s_branch .LBB12_16
	.section	.rodata,"a",@progbits
	.p2align	6, 0x0
	.amdhsa_kernel _ZN7rocprim17ROCPRIM_304000_NS6detail16transform_kernelINS1_24wrapped_transform_configINS0_14default_configEtEEtPKtPtNS0_8identityItEEEEvT1_mT2_T3_
		.amdhsa_group_segment_fixed_size 0
		.amdhsa_private_segment_fixed_size 0
		.amdhsa_kernarg_size 288
		.amdhsa_user_sgpr_count 2
		.amdhsa_user_sgpr_dispatch_ptr 0
		.amdhsa_user_sgpr_queue_ptr 0
		.amdhsa_user_sgpr_kernarg_segment_ptr 1
		.amdhsa_user_sgpr_dispatch_id 0
		.amdhsa_user_sgpr_kernarg_preload_length 0
		.amdhsa_user_sgpr_kernarg_preload_offset 0
		.amdhsa_user_sgpr_private_segment_size 0
		.amdhsa_uses_dynamic_stack 0
		.amdhsa_enable_private_segment 0
		.amdhsa_system_sgpr_workgroup_id_x 1
		.amdhsa_system_sgpr_workgroup_id_y 0
		.amdhsa_system_sgpr_workgroup_id_z 0
		.amdhsa_system_sgpr_workgroup_info 0
		.amdhsa_system_vgpr_workitem_id 0
		.amdhsa_next_free_vgpr 10
		.amdhsa_next_free_sgpr 15
		.amdhsa_accum_offset 12
		.amdhsa_reserve_vcc 1
		.amdhsa_float_round_mode_32 0
		.amdhsa_float_round_mode_16_64 0
		.amdhsa_float_denorm_mode_32 3
		.amdhsa_float_denorm_mode_16_64 3
		.amdhsa_dx10_clamp 1
		.amdhsa_ieee_mode 1
		.amdhsa_fp16_overflow 0
		.amdhsa_tg_split 0
		.amdhsa_exception_fp_ieee_invalid_op 0
		.amdhsa_exception_fp_denorm_src 0
		.amdhsa_exception_fp_ieee_div_zero 0
		.amdhsa_exception_fp_ieee_overflow 0
		.amdhsa_exception_fp_ieee_underflow 0
		.amdhsa_exception_fp_ieee_inexact 0
		.amdhsa_exception_int_div_zero 0
	.end_amdhsa_kernel
	.section	.text._ZN7rocprim17ROCPRIM_304000_NS6detail16transform_kernelINS1_24wrapped_transform_configINS0_14default_configEtEEtPKtPtNS0_8identityItEEEEvT1_mT2_T3_,"axG",@progbits,_ZN7rocprim17ROCPRIM_304000_NS6detail16transform_kernelINS1_24wrapped_transform_configINS0_14default_configEtEEtPKtPtNS0_8identityItEEEEvT1_mT2_T3_,comdat
.Lfunc_end12:
	.size	_ZN7rocprim17ROCPRIM_304000_NS6detail16transform_kernelINS1_24wrapped_transform_configINS0_14default_configEtEEtPKtPtNS0_8identityItEEEEvT1_mT2_T3_, .Lfunc_end12-_ZN7rocprim17ROCPRIM_304000_NS6detail16transform_kernelINS1_24wrapped_transform_configINS0_14default_configEtEEtPKtPtNS0_8identityItEEEEvT1_mT2_T3_
                                        ; -- End function
	.set _ZN7rocprim17ROCPRIM_304000_NS6detail16transform_kernelINS1_24wrapped_transform_configINS0_14default_configEtEEtPKtPtNS0_8identityItEEEEvT1_mT2_T3_.num_vgpr, 10
	.set _ZN7rocprim17ROCPRIM_304000_NS6detail16transform_kernelINS1_24wrapped_transform_configINS0_14default_configEtEEtPKtPtNS0_8identityItEEEEvT1_mT2_T3_.num_agpr, 0
	.set _ZN7rocprim17ROCPRIM_304000_NS6detail16transform_kernelINS1_24wrapped_transform_configINS0_14default_configEtEEtPKtPtNS0_8identityItEEEEvT1_mT2_T3_.numbered_sgpr, 15
	.set _ZN7rocprim17ROCPRIM_304000_NS6detail16transform_kernelINS1_24wrapped_transform_configINS0_14default_configEtEEtPKtPtNS0_8identityItEEEEvT1_mT2_T3_.num_named_barrier, 0
	.set _ZN7rocprim17ROCPRIM_304000_NS6detail16transform_kernelINS1_24wrapped_transform_configINS0_14default_configEtEEtPKtPtNS0_8identityItEEEEvT1_mT2_T3_.private_seg_size, 0
	.set _ZN7rocprim17ROCPRIM_304000_NS6detail16transform_kernelINS1_24wrapped_transform_configINS0_14default_configEtEEtPKtPtNS0_8identityItEEEEvT1_mT2_T3_.uses_vcc, 1
	.set _ZN7rocprim17ROCPRIM_304000_NS6detail16transform_kernelINS1_24wrapped_transform_configINS0_14default_configEtEEtPKtPtNS0_8identityItEEEEvT1_mT2_T3_.uses_flat_scratch, 0
	.set _ZN7rocprim17ROCPRIM_304000_NS6detail16transform_kernelINS1_24wrapped_transform_configINS0_14default_configEtEEtPKtPtNS0_8identityItEEEEvT1_mT2_T3_.has_dyn_sized_stack, 0
	.set _ZN7rocprim17ROCPRIM_304000_NS6detail16transform_kernelINS1_24wrapped_transform_configINS0_14default_configEtEEtPKtPtNS0_8identityItEEEEvT1_mT2_T3_.has_recursion, 0
	.set _ZN7rocprim17ROCPRIM_304000_NS6detail16transform_kernelINS1_24wrapped_transform_configINS0_14default_configEtEEtPKtPtNS0_8identityItEEEEvT1_mT2_T3_.has_indirect_call, 0
	.section	.AMDGPU.csdata,"",@progbits
; Kernel info:
; codeLenInByte = 608
; TotalNumSgprs: 21
; NumVgprs: 10
; NumAgprs: 0
; TotalNumVgprs: 10
; ScratchSize: 0
; MemoryBound: 0
; FloatMode: 240
; IeeeMode: 1
; LDSByteSize: 0 bytes/workgroup (compile time only)
; SGPRBlocks: 2
; VGPRBlocks: 1
; NumSGPRsForWavesPerEU: 21
; NumVGPRsForWavesPerEU: 10
; AccumOffset: 12
; Occupancy: 8
; WaveLimiterHint : 1
; COMPUTE_PGM_RSRC2:SCRATCH_EN: 0
; COMPUTE_PGM_RSRC2:USER_SGPR: 2
; COMPUTE_PGM_RSRC2:TRAP_HANDLER: 0
; COMPUTE_PGM_RSRC2:TGID_X_EN: 1
; COMPUTE_PGM_RSRC2:TGID_Y_EN: 0
; COMPUTE_PGM_RSRC2:TGID_Z_EN: 0
; COMPUTE_PGM_RSRC2:TIDIG_COMP_CNT: 0
; COMPUTE_PGM_RSRC3_GFX90A:ACCUM_OFFSET: 2
; COMPUTE_PGM_RSRC3_GFX90A:TG_SPLIT: 0
	.section	.text._ZN7rocprim17ROCPRIM_304000_NS6detail16transform_kernelINS1_24wrapped_transform_configINS0_14default_configEN2at4cuda3cub6detail10OpaqueTypeILi8EEEEESA_PKSA_PSA_NS0_8identityISA_EEEEvT1_mT2_T3_,"axG",@progbits,_ZN7rocprim17ROCPRIM_304000_NS6detail16transform_kernelINS1_24wrapped_transform_configINS0_14default_configEN2at4cuda3cub6detail10OpaqueTypeILi8EEEEESA_PKSA_PSA_NS0_8identityISA_EEEEvT1_mT2_T3_,comdat
	.protected	_ZN7rocprim17ROCPRIM_304000_NS6detail16transform_kernelINS1_24wrapped_transform_configINS0_14default_configEN2at4cuda3cub6detail10OpaqueTypeILi8EEEEESA_PKSA_PSA_NS0_8identityISA_EEEEvT1_mT2_T3_ ; -- Begin function _ZN7rocprim17ROCPRIM_304000_NS6detail16transform_kernelINS1_24wrapped_transform_configINS0_14default_configEN2at4cuda3cub6detail10OpaqueTypeILi8EEEEESA_PKSA_PSA_NS0_8identityISA_EEEEvT1_mT2_T3_
	.globl	_ZN7rocprim17ROCPRIM_304000_NS6detail16transform_kernelINS1_24wrapped_transform_configINS0_14default_configEN2at4cuda3cub6detail10OpaqueTypeILi8EEEEESA_PKSA_PSA_NS0_8identityISA_EEEEvT1_mT2_T3_
	.p2align	8
	.type	_ZN7rocprim17ROCPRIM_304000_NS6detail16transform_kernelINS1_24wrapped_transform_configINS0_14default_configEN2at4cuda3cub6detail10OpaqueTypeILi8EEEEESA_PKSA_PSA_NS0_8identityISA_EEEEvT1_mT2_T3_,@function
_ZN7rocprim17ROCPRIM_304000_NS6detail16transform_kernelINS1_24wrapped_transform_configINS0_14default_configEN2at4cuda3cub6detail10OpaqueTypeILi8EEEEESA_PKSA_PSA_NS0_8identityISA_EEEEvT1_mT2_T3_: ; @_ZN7rocprim17ROCPRIM_304000_NS6detail16transform_kernelINS1_24wrapped_transform_configINS0_14default_configEN2at4cuda3cub6detail10OpaqueTypeILi8EEEEESA_PKSA_PSA_NS0_8identityISA_EEEEvT1_mT2_T3_
; %bb.0:
	s_load_dword s3, s[0:1], 0x20
	s_load_dwordx4 s[4:7], s[0:1], 0x0
	s_lshl_b32 s8, s2, 7
	s_waitcnt lgkmcnt(0)
	s_add_i32 s3, s3, -1
	s_cmp_lg_u32 s2, s3
	s_cselect_b64 s[2:3], -1, 0
	s_sub_i32 s6, s6, s8
	v_cmp_gt_u32_e32 vcc, s6, v0
	s_or_b64 s[2:3], vcc, s[2:3]
	s_and_saveexec_b64 s[6:7], s[2:3]
	s_cbranch_execz .LBB13_2
; %bb.1:
	s_load_dwordx2 s[0:1], s[0:1], 0x10
	s_mov_b32 s9, 0
	s_lshl_b64 s[2:3], s[8:9], 3
	v_lshlrev_b32_e32 v2, 3, v0
	s_waitcnt lgkmcnt(0)
	s_add_u32 s0, s0, s2
	s_addc_u32 s1, s1, s3
	s_add_u32 s2, s4, s2
	s_addc_u32 s3, s5, s3
	global_load_dwordx2 v[0:1], v2, s[2:3]
	s_waitcnt vmcnt(0)
	global_store_dwordx2 v2, v[0:1], s[0:1]
.LBB13_2:
	s_endpgm
	.section	.rodata,"a",@progbits
	.p2align	6, 0x0
	.amdhsa_kernel _ZN7rocprim17ROCPRIM_304000_NS6detail16transform_kernelINS1_24wrapped_transform_configINS0_14default_configEN2at4cuda3cub6detail10OpaqueTypeILi8EEEEESA_PKSA_PSA_NS0_8identityISA_EEEEvT1_mT2_T3_
		.amdhsa_group_segment_fixed_size 0
		.amdhsa_private_segment_fixed_size 0
		.amdhsa_kernarg_size 288
		.amdhsa_user_sgpr_count 2
		.amdhsa_user_sgpr_dispatch_ptr 0
		.amdhsa_user_sgpr_queue_ptr 0
		.amdhsa_user_sgpr_kernarg_segment_ptr 1
		.amdhsa_user_sgpr_dispatch_id 0
		.amdhsa_user_sgpr_kernarg_preload_length 0
		.amdhsa_user_sgpr_kernarg_preload_offset 0
		.amdhsa_user_sgpr_private_segment_size 0
		.amdhsa_uses_dynamic_stack 0
		.amdhsa_enable_private_segment 0
		.amdhsa_system_sgpr_workgroup_id_x 1
		.amdhsa_system_sgpr_workgroup_id_y 0
		.amdhsa_system_sgpr_workgroup_id_z 0
		.amdhsa_system_sgpr_workgroup_info 0
		.amdhsa_system_vgpr_workitem_id 0
		.amdhsa_next_free_vgpr 3
		.amdhsa_next_free_sgpr 10
		.amdhsa_accum_offset 4
		.amdhsa_reserve_vcc 1
		.amdhsa_float_round_mode_32 0
		.amdhsa_float_round_mode_16_64 0
		.amdhsa_float_denorm_mode_32 3
		.amdhsa_float_denorm_mode_16_64 3
		.amdhsa_dx10_clamp 1
		.amdhsa_ieee_mode 1
		.amdhsa_fp16_overflow 0
		.amdhsa_tg_split 0
		.amdhsa_exception_fp_ieee_invalid_op 0
		.amdhsa_exception_fp_denorm_src 0
		.amdhsa_exception_fp_ieee_div_zero 0
		.amdhsa_exception_fp_ieee_overflow 0
		.amdhsa_exception_fp_ieee_underflow 0
		.amdhsa_exception_fp_ieee_inexact 0
		.amdhsa_exception_int_div_zero 0
	.end_amdhsa_kernel
	.section	.text._ZN7rocprim17ROCPRIM_304000_NS6detail16transform_kernelINS1_24wrapped_transform_configINS0_14default_configEN2at4cuda3cub6detail10OpaqueTypeILi8EEEEESA_PKSA_PSA_NS0_8identityISA_EEEEvT1_mT2_T3_,"axG",@progbits,_ZN7rocprim17ROCPRIM_304000_NS6detail16transform_kernelINS1_24wrapped_transform_configINS0_14default_configEN2at4cuda3cub6detail10OpaqueTypeILi8EEEEESA_PKSA_PSA_NS0_8identityISA_EEEEvT1_mT2_T3_,comdat
.Lfunc_end13:
	.size	_ZN7rocprim17ROCPRIM_304000_NS6detail16transform_kernelINS1_24wrapped_transform_configINS0_14default_configEN2at4cuda3cub6detail10OpaqueTypeILi8EEEEESA_PKSA_PSA_NS0_8identityISA_EEEEvT1_mT2_T3_, .Lfunc_end13-_ZN7rocprim17ROCPRIM_304000_NS6detail16transform_kernelINS1_24wrapped_transform_configINS0_14default_configEN2at4cuda3cub6detail10OpaqueTypeILi8EEEEESA_PKSA_PSA_NS0_8identityISA_EEEEvT1_mT2_T3_
                                        ; -- End function
	.set _ZN7rocprim17ROCPRIM_304000_NS6detail16transform_kernelINS1_24wrapped_transform_configINS0_14default_configEN2at4cuda3cub6detail10OpaqueTypeILi8EEEEESA_PKSA_PSA_NS0_8identityISA_EEEEvT1_mT2_T3_.num_vgpr, 3
	.set _ZN7rocprim17ROCPRIM_304000_NS6detail16transform_kernelINS1_24wrapped_transform_configINS0_14default_configEN2at4cuda3cub6detail10OpaqueTypeILi8EEEEESA_PKSA_PSA_NS0_8identityISA_EEEEvT1_mT2_T3_.num_agpr, 0
	.set _ZN7rocprim17ROCPRIM_304000_NS6detail16transform_kernelINS1_24wrapped_transform_configINS0_14default_configEN2at4cuda3cub6detail10OpaqueTypeILi8EEEEESA_PKSA_PSA_NS0_8identityISA_EEEEvT1_mT2_T3_.numbered_sgpr, 10
	.set _ZN7rocprim17ROCPRIM_304000_NS6detail16transform_kernelINS1_24wrapped_transform_configINS0_14default_configEN2at4cuda3cub6detail10OpaqueTypeILi8EEEEESA_PKSA_PSA_NS0_8identityISA_EEEEvT1_mT2_T3_.num_named_barrier, 0
	.set _ZN7rocprim17ROCPRIM_304000_NS6detail16transform_kernelINS1_24wrapped_transform_configINS0_14default_configEN2at4cuda3cub6detail10OpaqueTypeILi8EEEEESA_PKSA_PSA_NS0_8identityISA_EEEEvT1_mT2_T3_.private_seg_size, 0
	.set _ZN7rocprim17ROCPRIM_304000_NS6detail16transform_kernelINS1_24wrapped_transform_configINS0_14default_configEN2at4cuda3cub6detail10OpaqueTypeILi8EEEEESA_PKSA_PSA_NS0_8identityISA_EEEEvT1_mT2_T3_.uses_vcc, 1
	.set _ZN7rocprim17ROCPRIM_304000_NS6detail16transform_kernelINS1_24wrapped_transform_configINS0_14default_configEN2at4cuda3cub6detail10OpaqueTypeILi8EEEEESA_PKSA_PSA_NS0_8identityISA_EEEEvT1_mT2_T3_.uses_flat_scratch, 0
	.set _ZN7rocprim17ROCPRIM_304000_NS6detail16transform_kernelINS1_24wrapped_transform_configINS0_14default_configEN2at4cuda3cub6detail10OpaqueTypeILi8EEEEESA_PKSA_PSA_NS0_8identityISA_EEEEvT1_mT2_T3_.has_dyn_sized_stack, 0
	.set _ZN7rocprim17ROCPRIM_304000_NS6detail16transform_kernelINS1_24wrapped_transform_configINS0_14default_configEN2at4cuda3cub6detail10OpaqueTypeILi8EEEEESA_PKSA_PSA_NS0_8identityISA_EEEEvT1_mT2_T3_.has_recursion, 0
	.set _ZN7rocprim17ROCPRIM_304000_NS6detail16transform_kernelINS1_24wrapped_transform_configINS0_14default_configEN2at4cuda3cub6detail10OpaqueTypeILi8EEEEESA_PKSA_PSA_NS0_8identityISA_EEEEvT1_mT2_T3_.has_indirect_call, 0
	.section	.AMDGPU.csdata,"",@progbits
; Kernel info:
; codeLenInByte = 120
; TotalNumSgprs: 16
; NumVgprs: 3
; NumAgprs: 0
; TotalNumVgprs: 3
; ScratchSize: 0
; MemoryBound: 0
; FloatMode: 240
; IeeeMode: 1
; LDSByteSize: 0 bytes/workgroup (compile time only)
; SGPRBlocks: 1
; VGPRBlocks: 0
; NumSGPRsForWavesPerEU: 16
; NumVGPRsForWavesPerEU: 3
; AccumOffset: 4
; Occupancy: 8
; WaveLimiterHint : 0
; COMPUTE_PGM_RSRC2:SCRATCH_EN: 0
; COMPUTE_PGM_RSRC2:USER_SGPR: 2
; COMPUTE_PGM_RSRC2:TRAP_HANDLER: 0
; COMPUTE_PGM_RSRC2:TGID_X_EN: 1
; COMPUTE_PGM_RSRC2:TGID_Y_EN: 0
; COMPUTE_PGM_RSRC2:TGID_Z_EN: 0
; COMPUTE_PGM_RSRC2:TIDIG_COMP_CNT: 0
; COMPUTE_PGM_RSRC3_GFX90A:ACCUM_OFFSET: 0
; COMPUTE_PGM_RSRC3_GFX90A:TG_SPLIT: 0
	.section	.text._ZN7rocprim17ROCPRIM_304000_NS6detail25onesweep_iteration_kernelINS1_34wrapped_radix_sort_onesweep_configINS0_14default_configEtN2at4cuda3cub6detail10OpaqueTypeILi8EEEEELb1EPKtPtPKSA_PSA_mNS0_19identity_decomposerEEEvT1_T2_T3_T4_jPT5_SO_PNS1_23onesweep_lookback_stateET6_jjj,"axG",@progbits,_ZN7rocprim17ROCPRIM_304000_NS6detail25onesweep_iteration_kernelINS1_34wrapped_radix_sort_onesweep_configINS0_14default_configEtN2at4cuda3cub6detail10OpaqueTypeILi8EEEEELb1EPKtPtPKSA_PSA_mNS0_19identity_decomposerEEEvT1_T2_T3_T4_jPT5_SO_PNS1_23onesweep_lookback_stateET6_jjj,comdat
	.protected	_ZN7rocprim17ROCPRIM_304000_NS6detail25onesweep_iteration_kernelINS1_34wrapped_radix_sort_onesweep_configINS0_14default_configEtN2at4cuda3cub6detail10OpaqueTypeILi8EEEEELb1EPKtPtPKSA_PSA_mNS0_19identity_decomposerEEEvT1_T2_T3_T4_jPT5_SO_PNS1_23onesweep_lookback_stateET6_jjj ; -- Begin function _ZN7rocprim17ROCPRIM_304000_NS6detail25onesweep_iteration_kernelINS1_34wrapped_radix_sort_onesweep_configINS0_14default_configEtN2at4cuda3cub6detail10OpaqueTypeILi8EEEEELb1EPKtPtPKSA_PSA_mNS0_19identity_decomposerEEEvT1_T2_T3_T4_jPT5_SO_PNS1_23onesweep_lookback_stateET6_jjj
	.globl	_ZN7rocprim17ROCPRIM_304000_NS6detail25onesweep_iteration_kernelINS1_34wrapped_radix_sort_onesweep_configINS0_14default_configEtN2at4cuda3cub6detail10OpaqueTypeILi8EEEEELb1EPKtPtPKSA_PSA_mNS0_19identity_decomposerEEEvT1_T2_T3_T4_jPT5_SO_PNS1_23onesweep_lookback_stateET6_jjj
	.p2align	8
	.type	_ZN7rocprim17ROCPRIM_304000_NS6detail25onesweep_iteration_kernelINS1_34wrapped_radix_sort_onesweep_configINS0_14default_configEtN2at4cuda3cub6detail10OpaqueTypeILi8EEEEELb1EPKtPtPKSA_PSA_mNS0_19identity_decomposerEEEvT1_T2_T3_T4_jPT5_SO_PNS1_23onesweep_lookback_stateET6_jjj,@function
_ZN7rocprim17ROCPRIM_304000_NS6detail25onesweep_iteration_kernelINS1_34wrapped_radix_sort_onesweep_configINS0_14default_configEtN2at4cuda3cub6detail10OpaqueTypeILi8EEEEELb1EPKtPtPKSA_PSA_mNS0_19identity_decomposerEEEvT1_T2_T3_T4_jPT5_SO_PNS1_23onesweep_lookback_stateET6_jjj: ; @_ZN7rocprim17ROCPRIM_304000_NS6detail25onesweep_iteration_kernelINS1_34wrapped_radix_sort_onesweep_configINS0_14default_configEtN2at4cuda3cub6detail10OpaqueTypeILi8EEEEELb1EPKtPtPKSA_PSA_mNS0_19identity_decomposerEEEvT1_T2_T3_T4_jPT5_SO_PNS1_23onesweep_lookback_stateET6_jjj
; %bb.0:
	s_load_dwordx8 s[76:83], s[0:1], 0x0
	s_load_dwordx4 s[88:91], s[0:1], 0x44
	s_load_dwordx4 s[84:87], s[0:1], 0x28
	s_load_dwordx2 s[94:95], s[0:1], 0x38
	s_mov_b32 s3, s2
	s_mov_b64 s[4:5], -1
	s_waitcnt lgkmcnt(0)
	s_cmp_ge_u32 s2, s90
	s_mul_i32 s92, s2, 0x1200
	v_mbcnt_lo_u32_b32 v1, -1, 0
	s_cbranch_scc0 .LBB14_218
; %bb.1:
	s_load_dword s6, s[0:1], 0x20
	s_mulk_i32 s90, 0xee00
	s_mov_b32 s93, 0
	s_lshl_b64 s[4:5], s[92:93], 1
	v_mbcnt_hi_u32_b32 v3, -1, v1
	s_waitcnt lgkmcnt(0)
	s_add_i32 s90, s90, s6
	s_add_u32 s4, s76, s4
	v_and_b32_e32 v19, 0xc0, v0
	s_addc_u32 s5, s77, s5
	v_mul_u32_u24_e32 v14, 18, v19
	v_mov_b32_e32 v5, 0
	v_lshlrev_b32_e32 v4, 1, v3
	v_lshl_add_u64 v[6:7], s[4:5], 0, v[4:5]
	v_lshlrev_b32_e32 v4, 1, v14
	v_lshl_add_u64 v[4:5], v[6:7], 0, v[4:5]
	v_or_b32_e32 v6, v3, v14
	v_cmp_gt_u32_e32 vcc, s90, v6
	v_mov_b32_e32 v8, -1
	v_mov_b32_e32 v9, -1
	s_and_saveexec_b64 s[4:5], vcc
	s_cbranch_execz .LBB14_3
; %bb.2:
	global_load_ushort v2, v[4:5], off
	s_waitcnt vmcnt(0)
	v_xor_b32_e32 v9, -1, v2
.LBB14_3:
	s_or_b64 exec, exec, s[4:5]
	v_add_u32_e32 v2, 64, v6
	v_cmp_gt_u32_e64 s[74:75], s90, v2
	s_and_saveexec_b64 s[4:5], s[74:75]
	s_cbranch_execz .LBB14_5
; %bb.4:
	global_load_ushort v2, v[4:5], off offset:128
	s_waitcnt vmcnt(0)
	v_xor_b32_e32 v8, -1, v2
.LBB14_5:
	s_or_b64 exec, exec, s[4:5]
	v_add_u32_e32 v2, 0x80, v6
	v_cmp_gt_u32_e64 s[4:5], s90, v2
	v_mov_b32_e32 v10, -1
	v_mov_b32_e32 v11, -1
	s_and_saveexec_b64 s[6:7], s[4:5]
	s_cbranch_execz .LBB14_7
; %bb.6:
	global_load_ushort v2, v[4:5], off offset:256
	s_waitcnt vmcnt(0)
	v_xor_b32_e32 v11, -1, v2
.LBB14_7:
	s_or_b64 exec, exec, s[6:7]
	v_add_u32_e32 v2, 0xc0, v6
	v_cmp_gt_u32_e64 s[10:11], s90, v2
	s_and_saveexec_b64 s[6:7], s[10:11]
	s_cbranch_execz .LBB14_9
; %bb.8:
	global_load_ushort v2, v[4:5], off offset:384
	s_waitcnt vmcnt(0)
	v_xor_b32_e32 v10, -1, v2
.LBB14_9:
	s_or_b64 exec, exec, s[6:7]
	v_add_u32_e32 v2, 0x100, v6
	v_cmp_gt_u32_e64 s[16:17], s90, v2
	v_mov_b32_e32 v12, -1
	v_mov_b32_e32 v13, -1
	s_and_saveexec_b64 s[6:7], s[16:17]
	s_cbranch_execz .LBB14_11
; %bb.10:
	global_load_ushort v2, v[4:5], off offset:512
	s_waitcnt vmcnt(0)
	v_xor_b32_e32 v13, -1, v2
.LBB14_11:
	;; [unrolled: 22-line block ×8, first 2 shown]
	s_or_b64 exec, exec, s[6:7]
	v_add_u32_e32 v6, 0x440, v6
	v_and_b32_e32 v2, 0x3ff, v0
	v_cmp_gt_u32_e64 s[6:7], s90, v6
	s_and_saveexec_b64 s[38:39], s[6:7]
	s_cbranch_execz .LBB14_37
; %bb.36:
	global_load_ushort v4, v[4:5], off offset:2176
	s_waitcnt vmcnt(0)
	v_xor_b32_e32 v26, -1, v4
.LBB14_37:
	s_or_b64 exec, exec, s[38:39]
	s_load_dword s38, s[0:1], 0x5c
	s_load_dword s33, s[0:1], 0x50
	s_add_u32 s39, s0, 0x50
	s_addc_u32 s40, s1, 0
	v_mov_b32_e32 v5, 0
	s_waitcnt lgkmcnt(0)
	s_lshr_b32 s41, s38, 16
	s_cmp_lt_u32 s2, s33
	s_cselect_b32 s38, 12, 18
	s_add_u32 s38, s39, s38
	s_addc_u32 s39, s40, 0
	global_load_ushort v29, v5, s[38:39]
	v_lshrrev_b32_sdwa v31, s88, v9 dst_sel:DWORD dst_unused:UNUSED_PAD src0_sel:DWORD src1_sel:WORD_0
	s_lshl_b32 s38, -1, s89
	v_bfe_u32 v4, v0, 10, 10
	v_bfe_u32 v7, v0, 20, 10
	v_bitop3_b32 v45, v31, s38, v31 bitop3:0x30
	v_mad_u32_u24 v44, v7, s41, v4
	v_and_b32_e32 v4, 1, v45
	v_lshlrev_b32_e32 v7, 30, v45
	v_mov_b32_e32 v6, v5
	v_mov_b32_e32 v32, v5
	s_not_b32 s96, s38
	v_lshlrev_b32_e32 v31, 29, v45
	v_lshlrev_b32_e32 v33, 28, v45
	v_lshl_add_u64 v[42:43], v[4:5], 0, -1
	v_cmp_ne_u32_e64 s[38:39], 0, v4
	v_not_b32_e32 v4, v7
	v_mov_b32_e32 v30, v5
	v_mov_b32_e32 v34, v5
	v_lshlrev_b32_e32 v35, 27, v45
	v_cmp_gt_i64_e64 s[40:41], 0, v[6:7]
	v_not_b32_e32 v6, v31
	v_cmp_gt_i64_e64 s[44:45], 0, v[32:33]
	v_not_b32_e32 v7, v33
	v_xor_b32_e32 v33, s39, v43
	v_ashrrev_i32_e32 v4, 31, v4
	v_mov_b32_e32 v36, v5
	v_lshlrev_b32_e32 v37, 26, v45
	v_cmp_gt_i64_e64 s[42:43], 0, v[30:31]
	v_cmp_gt_i64_e64 s[46:47], 0, v[34:35]
	v_not_b32_e32 v30, v35
	v_xor_b32_e32 v34, s38, v42
	v_ashrrev_i32_e32 v6, 31, v6
	v_and_b32_e32 v33, exec_hi, v33
	v_xor_b32_e32 v35, s41, v4
	v_cmp_gt_i64_e64 s[48:49], 0, v[36:37]
	v_ashrrev_i32_e32 v7, 31, v7
	v_and_b32_e32 v34, exec_lo, v34
	v_xor_b32_e32 v4, s40, v4
	v_xor_b32_e32 v36, s43, v6
	v_and_b32_e32 v33, v33, v35
	v_mov_b32_e32 v38, v5
	v_lshlrev_b32_e32 v39, 25, v45
	v_not_b32_e32 v31, v37
	v_ashrrev_i32_e32 v30, 31, v30
	v_xor_b32_e32 v6, s42, v6
	v_xor_b32_e32 v37, s45, v7
	v_and_b32_e32 v4, v34, v4
	v_and_b32_e32 v33, v33, v36
	v_cmp_gt_i64_e64 s[50:51], 0, v[38:39]
	v_not_b32_e32 v32, v39
	v_ashrrev_i32_e32 v31, 31, v31
	v_xor_b32_e32 v7, s44, v7
	v_xor_b32_e32 v38, s47, v30
	v_and_b32_e32 v4, v4, v6
	v_and_b32_e32 v6, v33, v37
	v_mov_b32_e32 v40, v5
	v_lshlrev_b32_e32 v41, 24, v45
	v_ashrrev_i32_e32 v32, 31, v32
	v_xor_b32_e32 v30, s46, v30
	v_xor_b32_e32 v39, s49, v31
	v_and_b32_e32 v4, v4, v7
	v_and_b32_e32 v6, v6, v38
	v_cmp_gt_i64_e64 s[52:53], 0, v[40:41]
	v_xor_b32_e32 v31, s48, v31
	v_xor_b32_e32 v40, s51, v32
	v_and_b32_e32 v4, v4, v30
	v_and_b32_e32 v6, v6, v39
	;; [unrolled: 1-line block ×4, first 2 shown]
	v_xor_b32_e32 v32, s50, v32
	v_and_b32_e32 v4, v4, v32
	v_mul_u32_u24_e32 v28, 20, v2
	ds_write2_b32 v28, v5, v5 offset0:4 offset1:5
	ds_write2_b32 v28, v5, v5 offset0:6 offset1:7
	ds_write_b32 v28, v5 offset:32
	s_waitcnt lgkmcnt(0)
	s_barrier
	s_waitcnt vmcnt(0)
	; wave barrier
	v_mad_u64_u32 v[6:7], s[38:39], v44, v29, v[2:3]
	v_lshrrev_b32_e32 v6, 6, v6
	v_lshlrev_b32_e32 v38, 2, v6
	v_not_b32_e32 v6, v41
	v_ashrrev_i32_e32 v6, 31, v6
	v_xor_b32_e32 v7, s53, v6
	v_xor_b32_e32 v6, s52, v6
	v_and_b32_e32 v6, v4, v6
	v_and_b32_e32 v7, v31, v7
	v_mbcnt_lo_u32_b32 v4, v6, 0
	v_mbcnt_hi_u32_b32 v29, v7, v4
	v_cmp_eq_u32_e64 s[38:39], 0, v29
	v_cmp_ne_u64_e64 s[40:41], 0, v[6:7]
	v_mad_u32_u24 v30, v45, 20, v38
	s_and_b64 s[40:41], s[40:41], s[38:39]
	s_and_saveexec_b64 s[38:39], s[40:41]
; %bb.38:
	v_bcnt_u32_b32 v4, v6, 0
	v_bcnt_u32_b32 v4, v7, v4
	ds_write_b32 v30, v4 offset:16
; %bb.39:
	s_or_b64 exec, exec, s[38:39]
	v_lshrrev_b32_sdwa v4, s88, v8 dst_sel:DWORD dst_unused:UNUSED_PAD src0_sel:DWORD src1_sel:WORD_0
	v_and_b32_e32 v33, s96, v4
	v_and_b32_e32 v4, 1, v33
	v_lshl_add_u64 v[6:7], v[4:5], 0, -1
	v_cmp_ne_u32_e64 s[38:39], 0, v4
	v_mad_u32_u24 v32, v33, 20, v38
	s_nop 0
	v_xor_b32_e32 v6, s38, v6
	v_xor_b32_e32 v4, s39, v7
	v_and_b32_e32 v34, exec_lo, v6
	v_lshlrev_b32_e32 v7, 30, v33
	v_mov_b32_e32 v6, v5
	v_cmp_gt_i64_e64 s[38:39], 0, v[6:7]
	v_not_b32_e32 v6, v7
	v_ashrrev_i32_e32 v6, 31, v6
	v_and_b32_e32 v4, exec_hi, v4
	v_xor_b32_e32 v7, s39, v6
	v_xor_b32_e32 v6, s38, v6
	v_and_b32_e32 v4, v4, v7
	v_and_b32_e32 v34, v34, v6
	v_lshlrev_b32_e32 v7, 29, v33
	v_mov_b32_e32 v6, v5
	v_cmp_gt_i64_e64 s[38:39], 0, v[6:7]
	v_not_b32_e32 v6, v7
	v_ashrrev_i32_e32 v6, 31, v6
	v_xor_b32_e32 v7, s39, v6
	v_xor_b32_e32 v6, s38, v6
	v_and_b32_e32 v4, v4, v7
	v_and_b32_e32 v34, v34, v6
	v_lshlrev_b32_e32 v7, 28, v33
	v_mov_b32_e32 v6, v5
	v_cmp_gt_i64_e64 s[38:39], 0, v[6:7]
	v_not_b32_e32 v6, v7
	v_ashrrev_i32_e32 v6, 31, v6
	;; [unrolled: 9-line block ×5, first 2 shown]
	v_xor_b32_e32 v7, s39, v6
	v_xor_b32_e32 v6, s38, v6
	v_and_b32_e32 v4, v4, v7
	v_lshlrev_b32_e32 v7, 24, v33
	v_and_b32_e32 v34, v34, v6
	v_mov_b32_e32 v6, v5
	v_not_b32_e32 v5, v7
	v_cmp_gt_i64_e64 s[38:39], 0, v[6:7]
	v_ashrrev_i32_e32 v5, 31, v5
	; wave barrier
	s_nop 0
	v_xor_b32_e32 v6, s39, v5
	v_xor_b32_e32 v7, s38, v5
	ds_read_b32 v31, v32 offset:16
	v_and_b32_e32 v5, v4, v6
	v_and_b32_e32 v4, v34, v7
	v_mbcnt_lo_u32_b32 v6, v4, 0
	v_mbcnt_hi_u32_b32 v33, v5, v6
	v_cmp_eq_u32_e64 s[38:39], 0, v33
	v_cmp_ne_u64_e64 s[40:41], 0, v[4:5]
	s_and_b64 s[40:41], s[40:41], s[38:39]
	; wave barrier
	s_and_saveexec_b64 s[38:39], s[40:41]
	s_cbranch_execz .LBB14_41
; %bb.40:
	v_bcnt_u32_b32 v4, v4, 0
	v_bcnt_u32_b32 v4, v5, v4
	s_waitcnt lgkmcnt(0)
	v_add_u32_e32 v4, v31, v4
	ds_write_b32 v32, v4 offset:16
.LBB14_41:
	s_or_b64 exec, exec, s[38:39]
	v_lshrrev_b32_sdwa v4, s88, v11 dst_sel:DWORD dst_unused:UNUSED_PAD src0_sel:DWORD src1_sel:WORD_0
	v_and_b32_e32 v36, s96, v4
	v_and_b32_e32 v4, 1, v36
	v_mov_b32_e32 v5, 0
	v_lshl_add_u64 v[6:7], v[4:5], 0, -1
	v_cmp_ne_u32_e64 s[38:39], 0, v4
	v_mad_u32_u24 v35, v36, 20, v38
	s_nop 0
	v_xor_b32_e32 v6, s38, v6
	v_xor_b32_e32 v4, s39, v7
	v_and_b32_e32 v37, exec_lo, v6
	v_lshlrev_b32_e32 v7, 30, v36
	v_mov_b32_e32 v6, v5
	v_cmp_gt_i64_e64 s[38:39], 0, v[6:7]
	v_not_b32_e32 v6, v7
	v_ashrrev_i32_e32 v6, 31, v6
	v_and_b32_e32 v4, exec_hi, v4
	v_xor_b32_e32 v7, s39, v6
	v_xor_b32_e32 v6, s38, v6
	v_and_b32_e32 v4, v4, v7
	v_and_b32_e32 v37, v37, v6
	v_lshlrev_b32_e32 v7, 29, v36
	v_mov_b32_e32 v6, v5
	v_cmp_gt_i64_e64 s[38:39], 0, v[6:7]
	v_not_b32_e32 v6, v7
	v_ashrrev_i32_e32 v6, 31, v6
	v_xor_b32_e32 v7, s39, v6
	v_xor_b32_e32 v6, s38, v6
	v_and_b32_e32 v4, v4, v7
	v_and_b32_e32 v37, v37, v6
	v_lshlrev_b32_e32 v7, 28, v36
	v_mov_b32_e32 v6, v5
	v_cmp_gt_i64_e64 s[38:39], 0, v[6:7]
	v_not_b32_e32 v6, v7
	v_ashrrev_i32_e32 v6, 31, v6
	;; [unrolled: 9-line block ×6, first 2 shown]
	v_xor_b32_e32 v7, s39, v6
	v_xor_b32_e32 v6, s38, v6
	; wave barrier
	ds_read_b32 v34, v35 offset:16
	v_and_b32_e32 v6, v37, v6
	v_and_b32_e32 v7, v4, v7
	v_mbcnt_lo_u32_b32 v4, v6, 0
	v_mbcnt_hi_u32_b32 v36, v7, v4
	v_cmp_eq_u32_e64 s[38:39], 0, v36
	v_cmp_ne_u64_e64 s[40:41], 0, v[6:7]
	s_and_b64 s[40:41], s[40:41], s[38:39]
	; wave barrier
	s_and_saveexec_b64 s[38:39], s[40:41]
	s_cbranch_execz .LBB14_43
; %bb.42:
	v_bcnt_u32_b32 v4, v6, 0
	v_bcnt_u32_b32 v4, v7, v4
	s_waitcnt lgkmcnt(0)
	v_add_u32_e32 v4, v34, v4
	ds_write_b32 v35, v4 offset:16
.LBB14_43:
	s_or_b64 exec, exec, s[38:39]
	v_lshrrev_b32_sdwa v4, s88, v10 dst_sel:DWORD dst_unused:UNUSED_PAD src0_sel:DWORD src1_sel:WORD_0
	v_and_b32_e32 v40, s96, v4
	v_and_b32_e32 v4, 1, v40
	v_lshl_add_u64 v[6:7], v[4:5], 0, -1
	v_cmp_ne_u32_e64 s[38:39], 0, v4
	v_mad_u32_u24 v39, v40, 20, v38
	s_nop 0
	v_xor_b32_e32 v6, s38, v6
	v_xor_b32_e32 v4, s39, v7
	v_and_b32_e32 v41, exec_lo, v6
	v_lshlrev_b32_e32 v7, 30, v40
	v_mov_b32_e32 v6, v5
	v_cmp_gt_i64_e64 s[38:39], 0, v[6:7]
	v_not_b32_e32 v6, v7
	v_ashrrev_i32_e32 v6, 31, v6
	v_and_b32_e32 v4, exec_hi, v4
	v_xor_b32_e32 v7, s39, v6
	v_xor_b32_e32 v6, s38, v6
	v_and_b32_e32 v4, v4, v7
	v_and_b32_e32 v41, v41, v6
	v_lshlrev_b32_e32 v7, 29, v40
	v_mov_b32_e32 v6, v5
	v_cmp_gt_i64_e64 s[38:39], 0, v[6:7]
	v_not_b32_e32 v6, v7
	v_ashrrev_i32_e32 v6, 31, v6
	v_xor_b32_e32 v7, s39, v6
	v_xor_b32_e32 v6, s38, v6
	v_and_b32_e32 v4, v4, v7
	v_and_b32_e32 v41, v41, v6
	v_lshlrev_b32_e32 v7, 28, v40
	v_mov_b32_e32 v6, v5
	v_cmp_gt_i64_e64 s[38:39], 0, v[6:7]
	v_not_b32_e32 v6, v7
	v_ashrrev_i32_e32 v6, 31, v6
	;; [unrolled: 9-line block ×5, first 2 shown]
	v_xor_b32_e32 v7, s39, v6
	v_xor_b32_e32 v6, s38, v6
	v_and_b32_e32 v4, v4, v7
	v_lshlrev_b32_e32 v7, 24, v40
	v_and_b32_e32 v41, v41, v6
	v_mov_b32_e32 v6, v5
	v_not_b32_e32 v5, v7
	v_cmp_gt_i64_e64 s[38:39], 0, v[6:7]
	v_ashrrev_i32_e32 v5, 31, v5
	; wave barrier
	s_nop 0
	v_xor_b32_e32 v6, s39, v5
	v_xor_b32_e32 v7, s38, v5
	ds_read_b32 v37, v39 offset:16
	v_and_b32_e32 v5, v4, v6
	v_and_b32_e32 v4, v41, v7
	v_mbcnt_lo_u32_b32 v6, v4, 0
	v_mbcnt_hi_u32_b32 v40, v5, v6
	v_cmp_eq_u32_e64 s[38:39], 0, v40
	v_cmp_ne_u64_e64 s[40:41], 0, v[4:5]
	s_and_b64 s[40:41], s[40:41], s[38:39]
	; wave barrier
	s_and_saveexec_b64 s[38:39], s[40:41]
	s_cbranch_execz .LBB14_45
; %bb.44:
	v_bcnt_u32_b32 v4, v4, 0
	v_bcnt_u32_b32 v4, v5, v4
	s_waitcnt lgkmcnt(0)
	v_add_u32_e32 v4, v37, v4
	ds_write_b32 v39, v4 offset:16
.LBB14_45:
	s_or_b64 exec, exec, s[38:39]
	v_lshrrev_b32_sdwa v4, s88, v13 dst_sel:DWORD dst_unused:UNUSED_PAD src0_sel:DWORD src1_sel:WORD_0
	v_and_b32_e32 v43, s96, v4
	v_and_b32_e32 v4, 1, v43
	v_mov_b32_e32 v5, 0
	v_lshl_add_u64 v[6:7], v[4:5], 0, -1
	v_cmp_ne_u32_e64 s[38:39], 0, v4
	v_mad_u32_u24 v42, v43, 20, v38
	s_nop 0
	v_xor_b32_e32 v6, s38, v6
	v_xor_b32_e32 v4, s39, v7
	v_and_b32_e32 v44, exec_lo, v6
	v_lshlrev_b32_e32 v7, 30, v43
	v_mov_b32_e32 v6, v5
	v_cmp_gt_i64_e64 s[38:39], 0, v[6:7]
	v_not_b32_e32 v6, v7
	v_ashrrev_i32_e32 v6, 31, v6
	v_and_b32_e32 v4, exec_hi, v4
	v_xor_b32_e32 v7, s39, v6
	v_xor_b32_e32 v6, s38, v6
	v_and_b32_e32 v4, v4, v7
	v_and_b32_e32 v44, v44, v6
	v_lshlrev_b32_e32 v7, 29, v43
	v_mov_b32_e32 v6, v5
	v_cmp_gt_i64_e64 s[38:39], 0, v[6:7]
	v_not_b32_e32 v6, v7
	v_ashrrev_i32_e32 v6, 31, v6
	v_xor_b32_e32 v7, s39, v6
	v_xor_b32_e32 v6, s38, v6
	v_and_b32_e32 v4, v4, v7
	v_and_b32_e32 v44, v44, v6
	v_lshlrev_b32_e32 v7, 28, v43
	v_mov_b32_e32 v6, v5
	v_cmp_gt_i64_e64 s[38:39], 0, v[6:7]
	v_not_b32_e32 v6, v7
	v_ashrrev_i32_e32 v6, 31, v6
	;; [unrolled: 9-line block ×6, first 2 shown]
	v_xor_b32_e32 v7, s39, v6
	v_xor_b32_e32 v6, s38, v6
	; wave barrier
	ds_read_b32 v41, v42 offset:16
	v_and_b32_e32 v6, v44, v6
	v_and_b32_e32 v7, v4, v7
	v_mbcnt_lo_u32_b32 v4, v6, 0
	v_mbcnt_hi_u32_b32 v43, v7, v4
	v_cmp_eq_u32_e64 s[38:39], 0, v43
	v_cmp_ne_u64_e64 s[40:41], 0, v[6:7]
	s_and_b64 s[40:41], s[40:41], s[38:39]
	; wave barrier
	s_and_saveexec_b64 s[38:39], s[40:41]
	s_cbranch_execz .LBB14_47
; %bb.46:
	v_bcnt_u32_b32 v4, v6, 0
	v_bcnt_u32_b32 v4, v7, v4
	s_waitcnt lgkmcnt(0)
	v_add_u32_e32 v4, v41, v4
	ds_write_b32 v42, v4 offset:16
.LBB14_47:
	s_or_b64 exec, exec, s[38:39]
	v_lshrrev_b32_sdwa v4, s88, v12 dst_sel:DWORD dst_unused:UNUSED_PAD src0_sel:DWORD src1_sel:WORD_0
	v_and_b32_e32 v46, s96, v4
	v_and_b32_e32 v4, 1, v46
	v_lshl_add_u64 v[6:7], v[4:5], 0, -1
	v_cmp_ne_u32_e64 s[38:39], 0, v4
	v_mad_u32_u24 v45, v46, 20, v38
	s_nop 0
	v_xor_b32_e32 v6, s38, v6
	v_xor_b32_e32 v4, s39, v7
	v_and_b32_e32 v47, exec_lo, v6
	v_lshlrev_b32_e32 v7, 30, v46
	v_mov_b32_e32 v6, v5
	v_cmp_gt_i64_e64 s[38:39], 0, v[6:7]
	v_not_b32_e32 v6, v7
	v_ashrrev_i32_e32 v6, 31, v6
	v_and_b32_e32 v4, exec_hi, v4
	v_xor_b32_e32 v7, s39, v6
	v_xor_b32_e32 v6, s38, v6
	v_and_b32_e32 v4, v4, v7
	v_and_b32_e32 v47, v47, v6
	v_lshlrev_b32_e32 v7, 29, v46
	v_mov_b32_e32 v6, v5
	v_cmp_gt_i64_e64 s[38:39], 0, v[6:7]
	v_not_b32_e32 v6, v7
	v_ashrrev_i32_e32 v6, 31, v6
	v_xor_b32_e32 v7, s39, v6
	v_xor_b32_e32 v6, s38, v6
	v_and_b32_e32 v4, v4, v7
	v_and_b32_e32 v47, v47, v6
	v_lshlrev_b32_e32 v7, 28, v46
	v_mov_b32_e32 v6, v5
	v_cmp_gt_i64_e64 s[38:39], 0, v[6:7]
	v_not_b32_e32 v6, v7
	v_ashrrev_i32_e32 v6, 31, v6
	;; [unrolled: 9-line block ×5, first 2 shown]
	v_xor_b32_e32 v7, s39, v6
	v_xor_b32_e32 v6, s38, v6
	v_and_b32_e32 v4, v4, v7
	v_lshlrev_b32_e32 v7, 24, v46
	v_and_b32_e32 v47, v47, v6
	v_mov_b32_e32 v6, v5
	v_not_b32_e32 v5, v7
	v_cmp_gt_i64_e64 s[38:39], 0, v[6:7]
	v_ashrrev_i32_e32 v5, 31, v5
	; wave barrier
	s_nop 0
	v_xor_b32_e32 v6, s39, v5
	v_xor_b32_e32 v7, s38, v5
	ds_read_b32 v44, v45 offset:16
	v_and_b32_e32 v5, v4, v6
	v_and_b32_e32 v4, v47, v7
	v_mbcnt_lo_u32_b32 v6, v4, 0
	v_mbcnt_hi_u32_b32 v46, v5, v6
	v_cmp_eq_u32_e64 s[38:39], 0, v46
	v_cmp_ne_u64_e64 s[40:41], 0, v[4:5]
	s_and_b64 s[40:41], s[40:41], s[38:39]
	; wave barrier
	s_and_saveexec_b64 s[38:39], s[40:41]
	s_cbranch_execz .LBB14_49
; %bb.48:
	v_bcnt_u32_b32 v4, v4, 0
	v_bcnt_u32_b32 v4, v5, v4
	s_waitcnt lgkmcnt(0)
	v_add_u32_e32 v4, v44, v4
	ds_write_b32 v45, v4 offset:16
.LBB14_49:
	s_or_b64 exec, exec, s[38:39]
	v_lshrrev_b32_sdwa v4, s88, v16 dst_sel:DWORD dst_unused:UNUSED_PAD src0_sel:DWORD src1_sel:WORD_0
	v_and_b32_e32 v49, s96, v4
	v_and_b32_e32 v4, 1, v49
	v_mov_b32_e32 v5, 0
	v_lshl_add_u64 v[6:7], v[4:5], 0, -1
	v_cmp_ne_u32_e64 s[38:39], 0, v4
	v_mad_u32_u24 v48, v49, 20, v38
	s_nop 0
	v_xor_b32_e32 v6, s38, v6
	v_xor_b32_e32 v4, s39, v7
	v_and_b32_e32 v50, exec_lo, v6
	v_lshlrev_b32_e32 v7, 30, v49
	v_mov_b32_e32 v6, v5
	v_cmp_gt_i64_e64 s[38:39], 0, v[6:7]
	v_not_b32_e32 v6, v7
	v_ashrrev_i32_e32 v6, 31, v6
	v_and_b32_e32 v4, exec_hi, v4
	v_xor_b32_e32 v7, s39, v6
	v_xor_b32_e32 v6, s38, v6
	v_and_b32_e32 v4, v4, v7
	v_and_b32_e32 v50, v50, v6
	v_lshlrev_b32_e32 v7, 29, v49
	v_mov_b32_e32 v6, v5
	v_cmp_gt_i64_e64 s[38:39], 0, v[6:7]
	v_not_b32_e32 v6, v7
	v_ashrrev_i32_e32 v6, 31, v6
	v_xor_b32_e32 v7, s39, v6
	v_xor_b32_e32 v6, s38, v6
	v_and_b32_e32 v4, v4, v7
	v_and_b32_e32 v50, v50, v6
	v_lshlrev_b32_e32 v7, 28, v49
	v_mov_b32_e32 v6, v5
	v_cmp_gt_i64_e64 s[38:39], 0, v[6:7]
	v_not_b32_e32 v6, v7
	v_ashrrev_i32_e32 v6, 31, v6
	;; [unrolled: 9-line block ×6, first 2 shown]
	v_xor_b32_e32 v7, s39, v6
	v_xor_b32_e32 v6, s38, v6
	; wave barrier
	ds_read_b32 v47, v48 offset:16
	v_and_b32_e32 v6, v50, v6
	v_and_b32_e32 v7, v4, v7
	v_mbcnt_lo_u32_b32 v4, v6, 0
	v_mbcnt_hi_u32_b32 v49, v7, v4
	v_cmp_eq_u32_e64 s[38:39], 0, v49
	v_cmp_ne_u64_e64 s[40:41], 0, v[6:7]
	s_and_b64 s[40:41], s[40:41], s[38:39]
	; wave barrier
	s_and_saveexec_b64 s[38:39], s[40:41]
	s_cbranch_execz .LBB14_51
; %bb.50:
	v_bcnt_u32_b32 v4, v6, 0
	v_bcnt_u32_b32 v4, v7, v4
	s_waitcnt lgkmcnt(0)
	v_add_u32_e32 v4, v47, v4
	ds_write_b32 v48, v4 offset:16
.LBB14_51:
	s_or_b64 exec, exec, s[38:39]
	v_lshrrev_b32_sdwa v4, s88, v15 dst_sel:DWORD dst_unused:UNUSED_PAD src0_sel:DWORD src1_sel:WORD_0
	v_and_b32_e32 v52, s96, v4
	v_and_b32_e32 v4, 1, v52
	v_lshl_add_u64 v[6:7], v[4:5], 0, -1
	v_cmp_ne_u32_e64 s[38:39], 0, v4
	v_mad_u32_u24 v51, v52, 20, v38
	s_nop 0
	v_xor_b32_e32 v6, s38, v6
	v_xor_b32_e32 v4, s39, v7
	v_and_b32_e32 v53, exec_lo, v6
	v_lshlrev_b32_e32 v7, 30, v52
	v_mov_b32_e32 v6, v5
	v_cmp_gt_i64_e64 s[38:39], 0, v[6:7]
	v_not_b32_e32 v6, v7
	v_ashrrev_i32_e32 v6, 31, v6
	v_and_b32_e32 v4, exec_hi, v4
	v_xor_b32_e32 v7, s39, v6
	v_xor_b32_e32 v6, s38, v6
	v_and_b32_e32 v4, v4, v7
	v_and_b32_e32 v53, v53, v6
	v_lshlrev_b32_e32 v7, 29, v52
	v_mov_b32_e32 v6, v5
	v_cmp_gt_i64_e64 s[38:39], 0, v[6:7]
	v_not_b32_e32 v6, v7
	v_ashrrev_i32_e32 v6, 31, v6
	v_xor_b32_e32 v7, s39, v6
	v_xor_b32_e32 v6, s38, v6
	v_and_b32_e32 v4, v4, v7
	v_and_b32_e32 v53, v53, v6
	v_lshlrev_b32_e32 v7, 28, v52
	v_mov_b32_e32 v6, v5
	v_cmp_gt_i64_e64 s[38:39], 0, v[6:7]
	v_not_b32_e32 v6, v7
	v_ashrrev_i32_e32 v6, 31, v6
	;; [unrolled: 9-line block ×5, first 2 shown]
	v_xor_b32_e32 v7, s39, v6
	v_xor_b32_e32 v6, s38, v6
	v_and_b32_e32 v4, v4, v7
	v_lshlrev_b32_e32 v7, 24, v52
	v_and_b32_e32 v53, v53, v6
	v_mov_b32_e32 v6, v5
	v_not_b32_e32 v5, v7
	v_cmp_gt_i64_e64 s[38:39], 0, v[6:7]
	v_ashrrev_i32_e32 v5, 31, v5
	; wave barrier
	s_nop 0
	v_xor_b32_e32 v6, s39, v5
	v_xor_b32_e32 v7, s38, v5
	ds_read_b32 v50, v51 offset:16
	v_and_b32_e32 v5, v4, v6
	v_and_b32_e32 v4, v53, v7
	v_mbcnt_lo_u32_b32 v6, v4, 0
	v_mbcnt_hi_u32_b32 v52, v5, v6
	v_cmp_eq_u32_e64 s[38:39], 0, v52
	v_cmp_ne_u64_e64 s[40:41], 0, v[4:5]
	s_and_b64 s[40:41], s[40:41], s[38:39]
	; wave barrier
	s_and_saveexec_b64 s[38:39], s[40:41]
	s_cbranch_execz .LBB14_53
; %bb.52:
	v_bcnt_u32_b32 v4, v4, 0
	v_bcnt_u32_b32 v4, v5, v4
	s_waitcnt lgkmcnt(0)
	v_add_u32_e32 v4, v50, v4
	ds_write_b32 v51, v4 offset:16
.LBB14_53:
	s_or_b64 exec, exec, s[38:39]
	v_lshrrev_b32_sdwa v4, s88, v18 dst_sel:DWORD dst_unused:UNUSED_PAD src0_sel:DWORD src1_sel:WORD_0
	v_and_b32_e32 v55, s96, v4
	v_and_b32_e32 v4, 1, v55
	v_mov_b32_e32 v5, 0
	v_lshl_add_u64 v[6:7], v[4:5], 0, -1
	v_cmp_ne_u32_e64 s[38:39], 0, v4
	v_mad_u32_u24 v54, v55, 20, v38
	s_nop 0
	v_xor_b32_e32 v6, s38, v6
	v_xor_b32_e32 v4, s39, v7
	v_and_b32_e32 v56, exec_lo, v6
	v_lshlrev_b32_e32 v7, 30, v55
	v_mov_b32_e32 v6, v5
	v_cmp_gt_i64_e64 s[38:39], 0, v[6:7]
	v_not_b32_e32 v6, v7
	v_ashrrev_i32_e32 v6, 31, v6
	v_and_b32_e32 v4, exec_hi, v4
	v_xor_b32_e32 v7, s39, v6
	v_xor_b32_e32 v6, s38, v6
	v_and_b32_e32 v4, v4, v7
	v_and_b32_e32 v56, v56, v6
	v_lshlrev_b32_e32 v7, 29, v55
	v_mov_b32_e32 v6, v5
	v_cmp_gt_i64_e64 s[38:39], 0, v[6:7]
	v_not_b32_e32 v6, v7
	v_ashrrev_i32_e32 v6, 31, v6
	v_xor_b32_e32 v7, s39, v6
	v_xor_b32_e32 v6, s38, v6
	v_and_b32_e32 v4, v4, v7
	v_and_b32_e32 v56, v56, v6
	v_lshlrev_b32_e32 v7, 28, v55
	v_mov_b32_e32 v6, v5
	v_cmp_gt_i64_e64 s[38:39], 0, v[6:7]
	v_not_b32_e32 v6, v7
	v_ashrrev_i32_e32 v6, 31, v6
	v_xor_b32_e32 v7, s39, v6
	v_xor_b32_e32 v6, s38, v6
	v_and_b32_e32 v4, v4, v7
	v_and_b32_e32 v56, v56, v6
	v_lshlrev_b32_e32 v7, 27, v55
	v_mov_b32_e32 v6, v5
	v_cmp_gt_i64_e64 s[38:39], 0, v[6:7]
	v_not_b32_e32 v6, v7
	v_ashrrev_i32_e32 v6, 31, v6
	v_xor_b32_e32 v7, s39, v6
	v_xor_b32_e32 v6, s38, v6
	v_and_b32_e32 v4, v4, v7
	v_and_b32_e32 v56, v56, v6
	v_lshlrev_b32_e32 v7, 26, v55
	v_mov_b32_e32 v6, v5
	v_cmp_gt_i64_e64 s[38:39], 0, v[6:7]
	v_not_b32_e32 v6, v7
	v_ashrrev_i32_e32 v6, 31, v6
	v_xor_b32_e32 v7, s39, v6
	v_xor_b32_e32 v6, s38, v6
	v_and_b32_e32 v4, v4, v7
	v_and_b32_e32 v56, v56, v6
	v_lshlrev_b32_e32 v7, 25, v55
	v_mov_b32_e32 v6, v5
	v_cmp_gt_i64_e64 s[38:39], 0, v[6:7]
	v_not_b32_e32 v6, v7
	v_ashrrev_i32_e32 v6, 31, v6
	v_xor_b32_e32 v7, s39, v6
	v_xor_b32_e32 v6, s38, v6
	v_and_b32_e32 v4, v4, v7
	v_and_b32_e32 v56, v56, v6
	v_lshlrev_b32_e32 v7, 24, v55
	v_mov_b32_e32 v6, v5
	v_cmp_gt_i64_e64 s[38:39], 0, v[6:7]
	v_not_b32_e32 v6, v7
	v_ashrrev_i32_e32 v6, 31, v6
	v_xor_b32_e32 v7, s39, v6
	v_xor_b32_e32 v6, s38, v6
	; wave barrier
	ds_read_b32 v53, v54 offset:16
	v_and_b32_e32 v6, v56, v6
	v_and_b32_e32 v7, v4, v7
	v_mbcnt_lo_u32_b32 v4, v6, 0
	v_mbcnt_hi_u32_b32 v55, v7, v4
	v_cmp_eq_u32_e64 s[38:39], 0, v55
	v_cmp_ne_u64_e64 s[40:41], 0, v[6:7]
	s_and_b64 s[40:41], s[40:41], s[38:39]
	; wave barrier
	s_and_saveexec_b64 s[38:39], s[40:41]
	s_cbranch_execz .LBB14_55
; %bb.54:
	v_bcnt_u32_b32 v4, v6, 0
	v_bcnt_u32_b32 v4, v7, v4
	s_waitcnt lgkmcnt(0)
	v_add_u32_e32 v4, v53, v4
	ds_write_b32 v54, v4 offset:16
.LBB14_55:
	s_or_b64 exec, exec, s[38:39]
	v_lshrrev_b32_sdwa v4, s88, v17 dst_sel:DWORD dst_unused:UNUSED_PAD src0_sel:DWORD src1_sel:WORD_0
	v_and_b32_e32 v58, s96, v4
	v_and_b32_e32 v4, 1, v58
	v_lshl_add_u64 v[6:7], v[4:5], 0, -1
	v_cmp_ne_u32_e64 s[38:39], 0, v4
	v_mad_u32_u24 v57, v58, 20, v38
	s_nop 0
	v_xor_b32_e32 v6, s38, v6
	v_xor_b32_e32 v4, s39, v7
	v_and_b32_e32 v59, exec_lo, v6
	v_lshlrev_b32_e32 v7, 30, v58
	v_mov_b32_e32 v6, v5
	v_cmp_gt_i64_e64 s[38:39], 0, v[6:7]
	v_not_b32_e32 v6, v7
	v_ashrrev_i32_e32 v6, 31, v6
	v_and_b32_e32 v4, exec_hi, v4
	v_xor_b32_e32 v7, s39, v6
	v_xor_b32_e32 v6, s38, v6
	v_and_b32_e32 v4, v4, v7
	v_and_b32_e32 v59, v59, v6
	v_lshlrev_b32_e32 v7, 29, v58
	v_mov_b32_e32 v6, v5
	v_cmp_gt_i64_e64 s[38:39], 0, v[6:7]
	v_not_b32_e32 v6, v7
	v_ashrrev_i32_e32 v6, 31, v6
	v_xor_b32_e32 v7, s39, v6
	v_xor_b32_e32 v6, s38, v6
	v_and_b32_e32 v4, v4, v7
	v_and_b32_e32 v59, v59, v6
	v_lshlrev_b32_e32 v7, 28, v58
	v_mov_b32_e32 v6, v5
	v_cmp_gt_i64_e64 s[38:39], 0, v[6:7]
	v_not_b32_e32 v6, v7
	v_ashrrev_i32_e32 v6, 31, v6
	;; [unrolled: 9-line block ×5, first 2 shown]
	v_xor_b32_e32 v7, s39, v6
	v_xor_b32_e32 v6, s38, v6
	v_and_b32_e32 v4, v4, v7
	v_lshlrev_b32_e32 v7, 24, v58
	v_and_b32_e32 v59, v59, v6
	v_mov_b32_e32 v6, v5
	v_not_b32_e32 v5, v7
	v_cmp_gt_i64_e64 s[38:39], 0, v[6:7]
	v_ashrrev_i32_e32 v5, 31, v5
	; wave barrier
	s_nop 0
	v_xor_b32_e32 v6, s39, v5
	v_xor_b32_e32 v7, s38, v5
	ds_read_b32 v56, v57 offset:16
	v_and_b32_e32 v5, v4, v6
	v_and_b32_e32 v4, v59, v7
	v_mbcnt_lo_u32_b32 v6, v4, 0
	v_mbcnt_hi_u32_b32 v58, v5, v6
	v_cmp_eq_u32_e64 s[38:39], 0, v58
	v_cmp_ne_u64_e64 s[40:41], 0, v[4:5]
	s_and_b64 s[40:41], s[40:41], s[38:39]
	; wave barrier
	s_and_saveexec_b64 s[38:39], s[40:41]
	s_cbranch_execz .LBB14_57
; %bb.56:
	v_bcnt_u32_b32 v4, v4, 0
	v_bcnt_u32_b32 v4, v5, v4
	s_waitcnt lgkmcnt(0)
	v_add_u32_e32 v4, v56, v4
	ds_write_b32 v57, v4 offset:16
.LBB14_57:
	s_or_b64 exec, exec, s[38:39]
	v_lshrrev_b32_sdwa v4, s88, v21 dst_sel:DWORD dst_unused:UNUSED_PAD src0_sel:DWORD src1_sel:WORD_0
	v_and_b32_e32 v61, s96, v4
	v_and_b32_e32 v4, 1, v61
	v_mov_b32_e32 v5, 0
	v_lshl_add_u64 v[6:7], v[4:5], 0, -1
	v_cmp_ne_u32_e64 s[38:39], 0, v4
	v_mad_u32_u24 v60, v61, 20, v38
	s_nop 0
	v_xor_b32_e32 v6, s38, v6
	v_xor_b32_e32 v4, s39, v7
	v_and_b32_e32 v62, exec_lo, v6
	v_lshlrev_b32_e32 v7, 30, v61
	v_mov_b32_e32 v6, v5
	v_cmp_gt_i64_e64 s[38:39], 0, v[6:7]
	v_not_b32_e32 v6, v7
	v_ashrrev_i32_e32 v6, 31, v6
	v_and_b32_e32 v4, exec_hi, v4
	v_xor_b32_e32 v7, s39, v6
	v_xor_b32_e32 v6, s38, v6
	v_and_b32_e32 v4, v4, v7
	v_and_b32_e32 v62, v62, v6
	v_lshlrev_b32_e32 v7, 29, v61
	v_mov_b32_e32 v6, v5
	v_cmp_gt_i64_e64 s[38:39], 0, v[6:7]
	v_not_b32_e32 v6, v7
	v_ashrrev_i32_e32 v6, 31, v6
	v_xor_b32_e32 v7, s39, v6
	v_xor_b32_e32 v6, s38, v6
	v_and_b32_e32 v4, v4, v7
	v_and_b32_e32 v62, v62, v6
	v_lshlrev_b32_e32 v7, 28, v61
	v_mov_b32_e32 v6, v5
	v_cmp_gt_i64_e64 s[38:39], 0, v[6:7]
	v_not_b32_e32 v6, v7
	v_ashrrev_i32_e32 v6, 31, v6
	v_xor_b32_e32 v7, s39, v6
	v_xor_b32_e32 v6, s38, v6
	v_and_b32_e32 v4, v4, v7
	v_and_b32_e32 v62, v62, v6
	v_lshlrev_b32_e32 v7, 27, v61
	v_mov_b32_e32 v6, v5
	v_cmp_gt_i64_e64 s[38:39], 0, v[6:7]
	v_not_b32_e32 v6, v7
	v_ashrrev_i32_e32 v6, 31, v6
	v_xor_b32_e32 v7, s39, v6
	v_xor_b32_e32 v6, s38, v6
	v_and_b32_e32 v4, v4, v7
	v_and_b32_e32 v62, v62, v6
	v_lshlrev_b32_e32 v7, 26, v61
	v_mov_b32_e32 v6, v5
	v_cmp_gt_i64_e64 s[38:39], 0, v[6:7]
	v_not_b32_e32 v6, v7
	v_ashrrev_i32_e32 v6, 31, v6
	v_xor_b32_e32 v7, s39, v6
	v_xor_b32_e32 v6, s38, v6
	v_and_b32_e32 v4, v4, v7
	v_and_b32_e32 v62, v62, v6
	v_lshlrev_b32_e32 v7, 25, v61
	v_mov_b32_e32 v6, v5
	v_cmp_gt_i64_e64 s[38:39], 0, v[6:7]
	v_not_b32_e32 v6, v7
	v_ashrrev_i32_e32 v6, 31, v6
	v_xor_b32_e32 v7, s39, v6
	v_xor_b32_e32 v6, s38, v6
	v_and_b32_e32 v4, v4, v7
	v_and_b32_e32 v62, v62, v6
	v_lshlrev_b32_e32 v7, 24, v61
	v_mov_b32_e32 v6, v5
	v_cmp_gt_i64_e64 s[38:39], 0, v[6:7]
	v_not_b32_e32 v6, v7
	v_ashrrev_i32_e32 v6, 31, v6
	v_xor_b32_e32 v7, s39, v6
	v_xor_b32_e32 v6, s38, v6
	; wave barrier
	ds_read_b32 v59, v60 offset:16
	v_and_b32_e32 v6, v62, v6
	v_and_b32_e32 v7, v4, v7
	v_mbcnt_lo_u32_b32 v4, v6, 0
	v_mbcnt_hi_u32_b32 v61, v7, v4
	v_cmp_eq_u32_e64 s[38:39], 0, v61
	v_cmp_ne_u64_e64 s[40:41], 0, v[6:7]
	s_and_b64 s[40:41], s[40:41], s[38:39]
	; wave barrier
	s_and_saveexec_b64 s[38:39], s[40:41]
	s_cbranch_execz .LBB14_59
; %bb.58:
	v_bcnt_u32_b32 v4, v6, 0
	v_bcnt_u32_b32 v4, v7, v4
	s_waitcnt lgkmcnt(0)
	v_add_u32_e32 v4, v59, v4
	ds_write_b32 v60, v4 offset:16
.LBB14_59:
	s_or_b64 exec, exec, s[38:39]
	v_lshrrev_b32_sdwa v4, s88, v20 dst_sel:DWORD dst_unused:UNUSED_PAD src0_sel:DWORD src1_sel:WORD_0
	v_and_b32_e32 v64, s96, v4
	v_and_b32_e32 v4, 1, v64
	v_lshl_add_u64 v[6:7], v[4:5], 0, -1
	v_cmp_ne_u32_e64 s[38:39], 0, v4
	v_mad_u32_u24 v63, v64, 20, v38
	s_nop 0
	v_xor_b32_e32 v6, s38, v6
	v_xor_b32_e32 v4, s39, v7
	v_and_b32_e32 v65, exec_lo, v6
	v_lshlrev_b32_e32 v7, 30, v64
	v_mov_b32_e32 v6, v5
	v_cmp_gt_i64_e64 s[38:39], 0, v[6:7]
	v_not_b32_e32 v6, v7
	v_ashrrev_i32_e32 v6, 31, v6
	v_and_b32_e32 v4, exec_hi, v4
	v_xor_b32_e32 v7, s39, v6
	v_xor_b32_e32 v6, s38, v6
	v_and_b32_e32 v4, v4, v7
	v_and_b32_e32 v65, v65, v6
	v_lshlrev_b32_e32 v7, 29, v64
	v_mov_b32_e32 v6, v5
	v_cmp_gt_i64_e64 s[38:39], 0, v[6:7]
	v_not_b32_e32 v6, v7
	v_ashrrev_i32_e32 v6, 31, v6
	v_xor_b32_e32 v7, s39, v6
	v_xor_b32_e32 v6, s38, v6
	v_and_b32_e32 v4, v4, v7
	v_and_b32_e32 v65, v65, v6
	v_lshlrev_b32_e32 v7, 28, v64
	v_mov_b32_e32 v6, v5
	v_cmp_gt_i64_e64 s[38:39], 0, v[6:7]
	v_not_b32_e32 v6, v7
	v_ashrrev_i32_e32 v6, 31, v6
	;; [unrolled: 9-line block ×5, first 2 shown]
	v_xor_b32_e32 v7, s39, v6
	v_xor_b32_e32 v6, s38, v6
	v_and_b32_e32 v4, v4, v7
	v_lshlrev_b32_e32 v7, 24, v64
	v_and_b32_e32 v65, v65, v6
	v_mov_b32_e32 v6, v5
	v_not_b32_e32 v5, v7
	v_cmp_gt_i64_e64 s[38:39], 0, v[6:7]
	v_ashrrev_i32_e32 v5, 31, v5
	; wave barrier
	s_nop 0
	v_xor_b32_e32 v6, s39, v5
	v_xor_b32_e32 v7, s38, v5
	ds_read_b32 v62, v63 offset:16
	v_and_b32_e32 v5, v4, v6
	v_and_b32_e32 v4, v65, v7
	v_mbcnt_lo_u32_b32 v6, v4, 0
	v_mbcnt_hi_u32_b32 v64, v5, v6
	v_cmp_eq_u32_e64 s[38:39], 0, v64
	v_cmp_ne_u64_e64 s[40:41], 0, v[4:5]
	s_and_b64 s[40:41], s[40:41], s[38:39]
	; wave barrier
	s_and_saveexec_b64 s[38:39], s[40:41]
	s_cbranch_execz .LBB14_61
; %bb.60:
	v_bcnt_u32_b32 v4, v4, 0
	v_bcnt_u32_b32 v4, v5, v4
	s_waitcnt lgkmcnt(0)
	v_add_u32_e32 v4, v62, v4
	ds_write_b32 v63, v4 offset:16
.LBB14_61:
	s_or_b64 exec, exec, s[38:39]
	v_lshrrev_b32_sdwa v4, s88, v23 dst_sel:DWORD dst_unused:UNUSED_PAD src0_sel:DWORD src1_sel:WORD_0
	v_and_b32_e32 v67, s96, v4
	v_and_b32_e32 v4, 1, v67
	v_mov_b32_e32 v5, 0
	v_lshl_add_u64 v[6:7], v[4:5], 0, -1
	v_cmp_ne_u32_e64 s[38:39], 0, v4
	v_mad_u32_u24 v66, v67, 20, v38
	s_nop 0
	v_xor_b32_e32 v6, s38, v6
	v_xor_b32_e32 v4, s39, v7
	v_and_b32_e32 v68, exec_lo, v6
	v_lshlrev_b32_e32 v7, 30, v67
	v_mov_b32_e32 v6, v5
	v_cmp_gt_i64_e64 s[38:39], 0, v[6:7]
	v_not_b32_e32 v6, v7
	v_ashrrev_i32_e32 v6, 31, v6
	v_and_b32_e32 v4, exec_hi, v4
	v_xor_b32_e32 v7, s39, v6
	v_xor_b32_e32 v6, s38, v6
	v_and_b32_e32 v4, v4, v7
	v_and_b32_e32 v68, v68, v6
	v_lshlrev_b32_e32 v7, 29, v67
	v_mov_b32_e32 v6, v5
	v_cmp_gt_i64_e64 s[38:39], 0, v[6:7]
	v_not_b32_e32 v6, v7
	v_ashrrev_i32_e32 v6, 31, v6
	v_xor_b32_e32 v7, s39, v6
	v_xor_b32_e32 v6, s38, v6
	v_and_b32_e32 v4, v4, v7
	v_and_b32_e32 v68, v68, v6
	v_lshlrev_b32_e32 v7, 28, v67
	v_mov_b32_e32 v6, v5
	v_cmp_gt_i64_e64 s[38:39], 0, v[6:7]
	v_not_b32_e32 v6, v7
	v_ashrrev_i32_e32 v6, 31, v6
	;; [unrolled: 9-line block ×6, first 2 shown]
	v_xor_b32_e32 v7, s39, v6
	v_xor_b32_e32 v6, s38, v6
	; wave barrier
	ds_read_b32 v65, v66 offset:16
	v_and_b32_e32 v6, v68, v6
	v_and_b32_e32 v7, v4, v7
	v_mbcnt_lo_u32_b32 v4, v6, 0
	v_mbcnt_hi_u32_b32 v67, v7, v4
	v_cmp_eq_u32_e64 s[38:39], 0, v67
	v_cmp_ne_u64_e64 s[40:41], 0, v[6:7]
	s_and_b64 s[40:41], s[40:41], s[38:39]
	; wave barrier
	s_and_saveexec_b64 s[38:39], s[40:41]
	s_cbranch_execz .LBB14_63
; %bb.62:
	v_bcnt_u32_b32 v4, v6, 0
	v_bcnt_u32_b32 v4, v7, v4
	s_waitcnt lgkmcnt(0)
	v_add_u32_e32 v4, v65, v4
	ds_write_b32 v66, v4 offset:16
.LBB14_63:
	s_or_b64 exec, exec, s[38:39]
	v_lshrrev_b32_sdwa v4, s88, v22 dst_sel:DWORD dst_unused:UNUSED_PAD src0_sel:DWORD src1_sel:WORD_0
	v_and_b32_e32 v70, s96, v4
	v_and_b32_e32 v4, 1, v70
	v_lshl_add_u64 v[6:7], v[4:5], 0, -1
	v_cmp_ne_u32_e64 s[38:39], 0, v4
	v_mad_u32_u24 v69, v70, 20, v38
	s_nop 0
	v_xor_b32_e32 v6, s38, v6
	v_xor_b32_e32 v4, s39, v7
	v_and_b32_e32 v71, exec_lo, v6
	v_lshlrev_b32_e32 v7, 30, v70
	v_mov_b32_e32 v6, v5
	v_cmp_gt_i64_e64 s[38:39], 0, v[6:7]
	v_not_b32_e32 v6, v7
	v_ashrrev_i32_e32 v6, 31, v6
	v_and_b32_e32 v4, exec_hi, v4
	v_xor_b32_e32 v7, s39, v6
	v_xor_b32_e32 v6, s38, v6
	v_and_b32_e32 v4, v4, v7
	v_and_b32_e32 v71, v71, v6
	v_lshlrev_b32_e32 v7, 29, v70
	v_mov_b32_e32 v6, v5
	v_cmp_gt_i64_e64 s[38:39], 0, v[6:7]
	v_not_b32_e32 v6, v7
	v_ashrrev_i32_e32 v6, 31, v6
	v_xor_b32_e32 v7, s39, v6
	v_xor_b32_e32 v6, s38, v6
	v_and_b32_e32 v4, v4, v7
	v_and_b32_e32 v71, v71, v6
	v_lshlrev_b32_e32 v7, 28, v70
	v_mov_b32_e32 v6, v5
	v_cmp_gt_i64_e64 s[38:39], 0, v[6:7]
	v_not_b32_e32 v6, v7
	v_ashrrev_i32_e32 v6, 31, v6
	;; [unrolled: 9-line block ×5, first 2 shown]
	v_xor_b32_e32 v7, s39, v6
	v_xor_b32_e32 v6, s38, v6
	v_and_b32_e32 v4, v4, v7
	v_lshlrev_b32_e32 v7, 24, v70
	v_and_b32_e32 v71, v71, v6
	v_mov_b32_e32 v6, v5
	v_not_b32_e32 v5, v7
	v_cmp_gt_i64_e64 s[38:39], 0, v[6:7]
	v_ashrrev_i32_e32 v5, 31, v5
	; wave barrier
	s_nop 0
	v_xor_b32_e32 v6, s39, v5
	v_xor_b32_e32 v7, s38, v5
	ds_read_b32 v68, v69 offset:16
	v_and_b32_e32 v5, v4, v6
	v_and_b32_e32 v4, v71, v7
	v_mbcnt_lo_u32_b32 v6, v4, 0
	v_mbcnt_hi_u32_b32 v70, v5, v6
	v_cmp_eq_u32_e64 s[38:39], 0, v70
	v_cmp_ne_u64_e64 s[40:41], 0, v[4:5]
	s_and_b64 s[40:41], s[40:41], s[38:39]
	; wave barrier
	s_and_saveexec_b64 s[38:39], s[40:41]
	s_cbranch_execz .LBB14_65
; %bb.64:
	v_bcnt_u32_b32 v4, v4, 0
	v_bcnt_u32_b32 v4, v5, v4
	s_waitcnt lgkmcnt(0)
	v_add_u32_e32 v4, v68, v4
	ds_write_b32 v69, v4 offset:16
.LBB14_65:
	s_or_b64 exec, exec, s[38:39]
	v_lshrrev_b32_sdwa v4, s88, v25 dst_sel:DWORD dst_unused:UNUSED_PAD src0_sel:DWORD src1_sel:WORD_0
	v_and_b32_e32 v73, s96, v4
	v_and_b32_e32 v4, 1, v73
	v_mov_b32_e32 v5, 0
	v_lshl_add_u64 v[6:7], v[4:5], 0, -1
	v_cmp_ne_u32_e64 s[38:39], 0, v4
	v_mad_u32_u24 v72, v73, 20, v38
	s_nop 0
	v_xor_b32_e32 v6, s38, v6
	v_xor_b32_e32 v4, s39, v7
	v_and_b32_e32 v74, exec_lo, v6
	v_lshlrev_b32_e32 v7, 30, v73
	v_mov_b32_e32 v6, v5
	v_cmp_gt_i64_e64 s[38:39], 0, v[6:7]
	v_not_b32_e32 v6, v7
	v_ashrrev_i32_e32 v6, 31, v6
	v_and_b32_e32 v4, exec_hi, v4
	v_xor_b32_e32 v7, s39, v6
	v_xor_b32_e32 v6, s38, v6
	v_and_b32_e32 v4, v4, v7
	v_and_b32_e32 v74, v74, v6
	v_lshlrev_b32_e32 v7, 29, v73
	v_mov_b32_e32 v6, v5
	v_cmp_gt_i64_e64 s[38:39], 0, v[6:7]
	v_not_b32_e32 v6, v7
	v_ashrrev_i32_e32 v6, 31, v6
	v_xor_b32_e32 v7, s39, v6
	v_xor_b32_e32 v6, s38, v6
	v_and_b32_e32 v4, v4, v7
	v_and_b32_e32 v74, v74, v6
	v_lshlrev_b32_e32 v7, 28, v73
	v_mov_b32_e32 v6, v5
	v_cmp_gt_i64_e64 s[38:39], 0, v[6:7]
	v_not_b32_e32 v6, v7
	v_ashrrev_i32_e32 v6, 31, v6
	;; [unrolled: 9-line block ×6, first 2 shown]
	v_xor_b32_e32 v7, s39, v6
	v_xor_b32_e32 v6, s38, v6
	; wave barrier
	ds_read_b32 v71, v72 offset:16
	v_and_b32_e32 v6, v74, v6
	v_and_b32_e32 v7, v4, v7
	v_mbcnt_lo_u32_b32 v4, v6, 0
	v_mbcnt_hi_u32_b32 v73, v7, v4
	v_cmp_eq_u32_e64 s[38:39], 0, v73
	v_cmp_ne_u64_e64 s[40:41], 0, v[6:7]
	s_and_b64 s[40:41], s[40:41], s[38:39]
	; wave barrier
	s_and_saveexec_b64 s[38:39], s[40:41]
	s_cbranch_execz .LBB14_67
; %bb.66:
	v_bcnt_u32_b32 v4, v6, 0
	v_bcnt_u32_b32 v4, v7, v4
	s_waitcnt lgkmcnt(0)
	v_add_u32_e32 v4, v71, v4
	ds_write_b32 v72, v4 offset:16
.LBB14_67:
	s_or_b64 exec, exec, s[38:39]
	v_lshrrev_b32_sdwa v4, s88, v24 dst_sel:DWORD dst_unused:UNUSED_PAD src0_sel:DWORD src1_sel:WORD_0
	v_and_b32_e32 v76, s96, v4
	v_and_b32_e32 v4, 1, v76
	v_lshl_add_u64 v[6:7], v[4:5], 0, -1
	v_cmp_ne_u32_e64 s[38:39], 0, v4
	v_mad_u32_u24 v75, v76, 20, v38
	s_nop 0
	v_xor_b32_e32 v6, s38, v6
	v_xor_b32_e32 v4, s39, v7
	v_and_b32_e32 v77, exec_lo, v6
	v_lshlrev_b32_e32 v7, 30, v76
	v_mov_b32_e32 v6, v5
	v_cmp_gt_i64_e64 s[38:39], 0, v[6:7]
	v_not_b32_e32 v6, v7
	v_ashrrev_i32_e32 v6, 31, v6
	v_and_b32_e32 v4, exec_hi, v4
	v_xor_b32_e32 v7, s39, v6
	v_xor_b32_e32 v6, s38, v6
	v_and_b32_e32 v4, v4, v7
	v_and_b32_e32 v77, v77, v6
	v_lshlrev_b32_e32 v7, 29, v76
	v_mov_b32_e32 v6, v5
	v_cmp_gt_i64_e64 s[38:39], 0, v[6:7]
	v_not_b32_e32 v6, v7
	v_ashrrev_i32_e32 v6, 31, v6
	v_xor_b32_e32 v7, s39, v6
	v_xor_b32_e32 v6, s38, v6
	v_and_b32_e32 v4, v4, v7
	v_and_b32_e32 v77, v77, v6
	v_lshlrev_b32_e32 v7, 28, v76
	v_mov_b32_e32 v6, v5
	v_cmp_gt_i64_e64 s[38:39], 0, v[6:7]
	v_not_b32_e32 v6, v7
	v_ashrrev_i32_e32 v6, 31, v6
	;; [unrolled: 9-line block ×5, first 2 shown]
	v_xor_b32_e32 v7, s39, v6
	v_xor_b32_e32 v6, s38, v6
	v_and_b32_e32 v4, v4, v7
	v_lshlrev_b32_e32 v7, 24, v76
	v_and_b32_e32 v77, v77, v6
	v_mov_b32_e32 v6, v5
	v_not_b32_e32 v5, v7
	v_cmp_gt_i64_e64 s[38:39], 0, v[6:7]
	v_ashrrev_i32_e32 v5, 31, v5
	; wave barrier
	s_nop 0
	v_xor_b32_e32 v6, s39, v5
	v_xor_b32_e32 v7, s38, v5
	ds_read_b32 v74, v75 offset:16
	v_and_b32_e32 v5, v4, v6
	v_and_b32_e32 v4, v77, v7
	v_mbcnt_lo_u32_b32 v6, v4, 0
	v_mbcnt_hi_u32_b32 v76, v5, v6
	v_cmp_eq_u32_e64 s[38:39], 0, v76
	v_cmp_ne_u64_e64 s[40:41], 0, v[4:5]
	s_and_b64 s[40:41], s[40:41], s[38:39]
	; wave barrier
	s_and_saveexec_b64 s[38:39], s[40:41]
	s_cbranch_execz .LBB14_69
; %bb.68:
	v_bcnt_u32_b32 v4, v4, 0
	v_bcnt_u32_b32 v4, v5, v4
	s_waitcnt lgkmcnt(0)
	v_add_u32_e32 v4, v74, v4
	ds_write_b32 v75, v4 offset:16
.LBB14_69:
	s_or_b64 exec, exec, s[38:39]
	v_lshrrev_b32_sdwa v4, s88, v27 dst_sel:DWORD dst_unused:UNUSED_PAD src0_sel:DWORD src1_sel:WORD_0
	v_and_b32_e32 v79, s96, v4
	v_and_b32_e32 v4, 1, v79
	v_mov_b32_e32 v5, 0
	v_lshl_add_u64 v[6:7], v[4:5], 0, -1
	v_cmp_ne_u32_e64 s[38:39], 0, v4
	v_mad_u32_u24 v78, v79, 20, v38
	s_nop 0
	v_xor_b32_e32 v6, s38, v6
	v_xor_b32_e32 v4, s39, v7
	v_and_b32_e32 v80, exec_lo, v6
	v_lshlrev_b32_e32 v7, 30, v79
	v_mov_b32_e32 v6, v5
	v_cmp_gt_i64_e64 s[38:39], 0, v[6:7]
	v_not_b32_e32 v6, v7
	v_ashrrev_i32_e32 v6, 31, v6
	v_and_b32_e32 v4, exec_hi, v4
	v_xor_b32_e32 v7, s39, v6
	v_xor_b32_e32 v6, s38, v6
	v_and_b32_e32 v4, v4, v7
	v_and_b32_e32 v80, v80, v6
	v_lshlrev_b32_e32 v7, 29, v79
	v_mov_b32_e32 v6, v5
	v_cmp_gt_i64_e64 s[38:39], 0, v[6:7]
	v_not_b32_e32 v6, v7
	v_ashrrev_i32_e32 v6, 31, v6
	v_xor_b32_e32 v7, s39, v6
	v_xor_b32_e32 v6, s38, v6
	v_and_b32_e32 v4, v4, v7
	v_and_b32_e32 v80, v80, v6
	v_lshlrev_b32_e32 v7, 28, v79
	v_mov_b32_e32 v6, v5
	v_cmp_gt_i64_e64 s[38:39], 0, v[6:7]
	v_not_b32_e32 v6, v7
	v_ashrrev_i32_e32 v6, 31, v6
	;; [unrolled: 9-line block ×6, first 2 shown]
	v_xor_b32_e32 v7, s39, v6
	v_xor_b32_e32 v6, s38, v6
	; wave barrier
	ds_read_b32 v77, v78 offset:16
	v_and_b32_e32 v6, v80, v6
	v_and_b32_e32 v7, v4, v7
	v_mbcnt_lo_u32_b32 v4, v6, 0
	v_mbcnt_hi_u32_b32 v79, v7, v4
	v_cmp_eq_u32_e64 s[38:39], 0, v79
	v_cmp_ne_u64_e64 s[40:41], 0, v[6:7]
	s_and_b64 s[40:41], s[40:41], s[38:39]
	; wave barrier
	s_and_saveexec_b64 s[38:39], s[40:41]
	s_cbranch_execz .LBB14_71
; %bb.70:
	v_bcnt_u32_b32 v4, v6, 0
	v_bcnt_u32_b32 v4, v7, v4
	s_waitcnt lgkmcnt(0)
	v_add_u32_e32 v4, v77, v4
	ds_write_b32 v78, v4 offset:16
.LBB14_71:
	s_or_b64 exec, exec, s[38:39]
	v_lshrrev_b32_sdwa v4, s88, v26 dst_sel:DWORD dst_unused:UNUSED_PAD src0_sel:DWORD src1_sel:WORD_0
	v_and_b32_e32 v81, s96, v4
	v_and_b32_e32 v4, 1, v81
	v_lshl_add_u64 v[6:7], v[4:5], 0, -1
	v_cmp_ne_u32_e64 s[38:39], 0, v4
	v_mad_u32_u24 v38, v81, 20, v38
	s_nop 0
	v_xor_b32_e32 v6, s38, v6
	v_xor_b32_e32 v4, s39, v7
	v_and_b32_e32 v82, exec_lo, v6
	v_lshlrev_b32_e32 v7, 30, v81
	v_mov_b32_e32 v6, v5
	v_cmp_gt_i64_e64 s[38:39], 0, v[6:7]
	v_not_b32_e32 v6, v7
	v_ashrrev_i32_e32 v6, 31, v6
	v_and_b32_e32 v4, exec_hi, v4
	v_xor_b32_e32 v7, s39, v6
	v_xor_b32_e32 v6, s38, v6
	v_and_b32_e32 v4, v4, v7
	v_and_b32_e32 v82, v82, v6
	v_lshlrev_b32_e32 v7, 29, v81
	v_mov_b32_e32 v6, v5
	v_cmp_gt_i64_e64 s[38:39], 0, v[6:7]
	v_not_b32_e32 v6, v7
	v_ashrrev_i32_e32 v6, 31, v6
	v_xor_b32_e32 v7, s39, v6
	v_xor_b32_e32 v6, s38, v6
	v_and_b32_e32 v4, v4, v7
	v_and_b32_e32 v82, v82, v6
	v_lshlrev_b32_e32 v7, 28, v81
	v_mov_b32_e32 v6, v5
	v_cmp_gt_i64_e64 s[38:39], 0, v[6:7]
	v_not_b32_e32 v6, v7
	v_ashrrev_i32_e32 v6, 31, v6
	;; [unrolled: 9-line block ×5, first 2 shown]
	v_xor_b32_e32 v7, s39, v6
	v_xor_b32_e32 v6, s38, v6
	v_and_b32_e32 v4, v4, v7
	v_lshlrev_b32_e32 v7, 24, v81
	v_and_b32_e32 v82, v82, v6
	v_mov_b32_e32 v6, v5
	v_not_b32_e32 v5, v7
	v_cmp_gt_i64_e64 s[38:39], 0, v[6:7]
	v_ashrrev_i32_e32 v5, 31, v5
	; wave barrier
	s_nop 0
	v_xor_b32_e32 v6, s39, v5
	v_xor_b32_e32 v7, s38, v5
	ds_read_b32 v80, v38 offset:16
	v_and_b32_e32 v5, v4, v6
	v_and_b32_e32 v4, v82, v7
	v_mbcnt_lo_u32_b32 v6, v4, 0
	v_mbcnt_hi_u32_b32 v81, v5, v6
	v_cmp_eq_u32_e64 s[38:39], 0, v81
	v_cmp_ne_u64_e64 s[40:41], 0, v[4:5]
	s_and_b64 s[40:41], s[40:41], s[38:39]
	; wave barrier
	s_and_saveexec_b64 s[38:39], s[40:41]
	s_cbranch_execz .LBB14_73
; %bb.72:
	v_bcnt_u32_b32 v4, v4, 0
	v_bcnt_u32_b32 v4, v5, v4
	s_waitcnt lgkmcnt(0)
	v_add_u32_e32 v4, v80, v4
	ds_write_b32 v38, v4 offset:16
.LBB14_73:
	s_or_b64 exec, exec, s[38:39]
	; wave barrier
	s_waitcnt lgkmcnt(0)
	s_barrier
	ds_read2_b32 v[6:7], v28 offset0:4 offset1:5
	ds_read2_b32 v[4:5], v28 offset0:6 offset1:7
	ds_read_b32 v82, v28 offset:32
	v_min_u32_e32 v19, 0xc0, v19
	v_or_b32_e32 v19, 63, v19
	s_waitcnt lgkmcnt(1)
	v_add3_u32 v83, v7, v6, v4
	s_waitcnt lgkmcnt(0)
	v_add3_u32 v82, v83, v5, v82
	v_and_b32_e32 v83, 15, v3
	v_cmp_ne_u32_e64 s[38:39], 0, v83
	v_mov_b32_dpp v84, v82 row_shr:1 row_mask:0xf bank_mask:0xf
	s_nop 0
	v_cndmask_b32_e64 v84, 0, v84, s[38:39]
	v_add_u32_e32 v82, v84, v82
	v_cmp_lt_u32_e64 s[38:39], 1, v83
	s_nop 0
	v_mov_b32_dpp v84, v82 row_shr:2 row_mask:0xf bank_mask:0xf
	v_cndmask_b32_e64 v84, 0, v84, s[38:39]
	v_add_u32_e32 v82, v82, v84
	v_cmp_lt_u32_e64 s[38:39], 3, v83
	s_nop 0
	v_mov_b32_dpp v84, v82 row_shr:4 row_mask:0xf bank_mask:0xf
	;; [unrolled: 5-line block ×3, first 2 shown]
	v_cndmask_b32_e64 v83, 0, v84, s[38:39]
	v_add_u32_e32 v82, v82, v83
	v_bfe_i32 v84, v3, 4, 1
	v_cmp_lt_u32_e64 s[38:39], 31, v3
	v_mov_b32_dpp v83, v82 row_bcast:15 row_mask:0xf bank_mask:0xf
	v_and_b32_e32 v83, v84, v83
	v_add_u32_e32 v82, v82, v83
	s_nop 1
	v_mov_b32_dpp v83, v82 row_bcast:31 row_mask:0xf bank_mask:0xf
	v_cndmask_b32_e64 v83, 0, v83, s[38:39]
	v_add_u32_e32 v82, v82, v83
	v_lshrrev_b32_e32 v83, 6, v2
	v_cmp_eq_u32_e64 s[38:39], v2, v19
	s_and_saveexec_b64 s[40:41], s[38:39]
; %bb.74:
	v_lshlrev_b32_e32 v19, 2, v83
	ds_write_b32 v19, v82
; %bb.75:
	s_or_b64 exec, exec, s[40:41]
	v_cmp_gt_u32_e64 s[38:39], 4, v2
	s_waitcnt lgkmcnt(0)
	s_barrier
	s_and_saveexec_b64 s[40:41], s[38:39]
	s_cbranch_execz .LBB14_77
; %bb.76:
	v_lshlrev_b32_e32 v19, 2, v2
	ds_read_b32 v84, v19
	v_and_b32_e32 v85, 3, v3
	v_cmp_ne_u32_e64 s[38:39], 0, v85
	s_waitcnt lgkmcnt(0)
	v_mov_b32_dpp v86, v84 row_shr:1 row_mask:0xf bank_mask:0xf
	v_cndmask_b32_e64 v86, 0, v86, s[38:39]
	v_add_u32_e32 v84, v86, v84
	v_cmp_lt_u32_e64 s[38:39], 1, v85
	s_nop 0
	v_mov_b32_dpp v86, v84 row_shr:2 row_mask:0xf bank_mask:0xf
	v_cndmask_b32_e64 v85, 0, v86, s[38:39]
	v_add_u32_e32 v84, v84, v85
	ds_write_b32 v19, v84
.LBB14_77:
	s_or_b64 exec, exec, s[40:41]
	v_cmp_lt_u32_e64 s[38:39], 63, v2
	v_mov_b32_e32 v19, 0
	s_waitcnt lgkmcnt(0)
	s_barrier
	s_and_saveexec_b64 s[40:41], s[38:39]
; %bb.78:
	v_lshl_add_u32 v19, v83, 2, -4
	ds_read_b32 v19, v19
; %bb.79:
	s_or_b64 exec, exec, s[40:41]
	v_add_u32_e32 v83, -1, v3
	v_and_b32_e32 v84, 64, v3
	v_cmp_lt_i32_e64 s[38:39], v83, v84
	s_waitcnt lgkmcnt(0)
	v_add_u32_e32 v82, v19, v82
	v_cndmask_b32_e64 v83, v83, v3, s[38:39]
	v_lshlrev_b32_e32 v83, 2, v83
	ds_bpermute_b32 v82, v83, v82
	v_cmp_eq_u32_e64 s[38:39], 0, v3
	s_waitcnt lgkmcnt(0)
	s_nop 0
	v_cndmask_b32_e64 v19, v82, v19, s[38:39]
	v_cmp_ne_u32_e64 s[38:39], 0, v2
	s_nop 1
	v_cndmask_b32_e64 v19, 0, v19, s[38:39]
	v_add_u32_e32 v6, v19, v6
	v_add_u32_e32 v7, v6, v7
	;; [unrolled: 1-line block ×4, first 2 shown]
	ds_write2_b32 v28, v19, v6 offset0:4 offset1:5
	ds_write2_b32 v28, v7, v4 offset0:6 offset1:7
	ds_write_b32 v28, v5 offset:32
	s_waitcnt lgkmcnt(0)
	s_barrier
	ds_read_b32 v6, v51 offset:16
	ds_read_b32 v7, v54 offset:16
	ds_read_b32 v19, v57 offset:16
	ds_read_b32 v51, v60 offset:16
	ds_read_b32 v54, v63 offset:16
	ds_read_b32 v57, v66 offset:16
	ds_read_b32 v60, v69 offset:16
	ds_read_b32 v63, v72 offset:16
	ds_read_b32 v66, v75 offset:16
	ds_read_b32 v69, v78 offset:16
	ds_read_b32 v72, v38 offset:16
	ds_read_b32 v30, v30 offset:16
	ds_read_b32 v32, v32 offset:16
	ds_read_b32 v35, v35 offset:16
	ds_read_b32 v38, v39 offset:16
	ds_read_b32 v39, v42 offset:16
	ds_read_b32 v75, v45 offset:16
	ds_read_b32 v78, v48 offset:16
	ds_read_b32 v4, v28 offset:16
	v_add_u32_e32 v28, 1, v2
	s_movk_i32 s38, 0x100
	v_cmp_ne_u32_e64 s[38:39], s38, v28
	v_mov_b32_e32 v5, 0x1200
	s_and_saveexec_b64 s[40:41], s[38:39]
; %bb.80:
	v_mul_u32_u24_e32 v5, 20, v28
	ds_read_b32 v5, v5 offset:16
; %bb.81:
	s_or_b64 exec, exec, s[40:41]
	s_waitcnt lgkmcnt(7)
	v_add_u32_e32 v48, v30, v29
	s_waitcnt lgkmcnt(6)
	v_add3_u32 v45, v33, v31, v32
	s_waitcnt lgkmcnt(5)
	v_add3_u32 v42, v36, v34, v35
	v_add3_u32 v36, v52, v50, v6
	v_lshlrev_b32_e32 v6, 1, v48
	s_waitcnt lgkmcnt(0)
	s_barrier
	ds_write_b16 v6, v9 offset:2048
	v_lshlrev_b32_e32 v6, 1, v45
	v_add3_u32 v40, v40, v37, v38
	ds_write_b16 v6, v8 offset:2048
	v_lshlrev_b32_e32 v6, 1, v42
	v_add3_u32 v39, v43, v41, v39
	;; [unrolled: 3-line block ×4, first 2 shown]
	ds_write_b16 v6, v13 offset:2048
	v_lshlrev_b32_e32 v6, 1, v38
	ds_write_b16 v6, v12 offset:2048
	v_lshlrev_b32_e32 v6, 1, v37
	v_add3_u32 v35, v55, v53, v7
	ds_write_b16 v6, v16 offset:2048
	v_lshlrev_b32_e32 v6, 1, v36
	v_add3_u32 v34, v58, v56, v19
	;; [unrolled: 3-line block ×10, first 2 shown]
	ds_write_b16 v6, v24 offset:2048
	v_lshlrev_b32_e32 v6, 1, v19
	ds_write_b16 v6, v27 offset:2048
	v_lshlrev_b32_e32 v6, 1, v7
	ds_write_b16 v6, v26 offset:2048
	v_sub_u32_e32 v6, v5, v4
	v_lshl_add_u32 v8, s2, 8, v2
	v_mov_b32_e32 v9, 0
	v_lshl_add_u64 v[10:11], v[8:9], 2, s[94:95]
	v_or_b32_e32 v5, 2.0, v6
	s_mov_b64 s[40:41], 0
	s_brev_b32 s46, -4
	s_mov_b32 s47, s3
	v_mov_b32_e32 v15, 0
	s_waitcnt lgkmcnt(0)
	s_barrier
	global_store_dword v[10:11], v5, off sc1
                                        ; implicit-def: $sgpr38_sgpr39
	s_branch .LBB14_84
.LBB14_82:                              ;   in Loop: Header=BB14_84 Depth=1
	s_or_b64 exec, exec, s[44:45]
.LBB14_83:                              ;   in Loop: Header=BB14_84 Depth=1
	s_or_b64 exec, exec, s[42:43]
	v_and_b32_e32 v8, 0x3fffffff, v5
	v_add_u32_e32 v15, v8, v15
	v_cmp_gt_i32_e64 s[38:39], -2.0, v5
	s_and_b64 s[42:43], exec, s[38:39]
	s_or_b64 s[40:41], s[42:43], s[40:41]
	s_andn2_b64 exec, exec, s[40:41]
	s_cbranch_execz .LBB14_89
.LBB14_84:                              ; =>This Loop Header: Depth=1
                                        ;     Child Loop BB14_87 Depth 2
	s_or_b64 s[38:39], s[38:39], exec
	s_cmp_eq_u32 s47, 0
	s_cbranch_scc1 .LBB14_88
; %bb.85:                               ;   in Loop: Header=BB14_84 Depth=1
	s_add_i32 s47, s47, -1
	v_lshl_add_u32 v8, s47, 8, v2
	v_lshl_add_u64 v[12:13], v[8:9], 2, s[94:95]
	global_load_dword v5, v[12:13], off sc1
	s_waitcnt vmcnt(0)
	v_cmp_gt_u32_e64 s[38:39], 2.0, v5
	s_and_saveexec_b64 s[42:43], s[38:39]
	s_cbranch_execz .LBB14_83
; %bb.86:                               ;   in Loop: Header=BB14_84 Depth=1
	s_mov_b64 s[44:45], 0
.LBB14_87:                              ;   Parent Loop BB14_84 Depth=1
                                        ; =>  This Inner Loop Header: Depth=2
	global_load_dword v5, v[12:13], off sc1
	s_waitcnt vmcnt(0)
	v_cmp_lt_u32_e64 s[38:39], s46, v5
	s_or_b64 s[44:45], s[38:39], s[44:45]
	s_andn2_b64 exec, exec, s[44:45]
	s_cbranch_execnz .LBB14_87
	s_branch .LBB14_82
.LBB14_88:                              ;   in Loop: Header=BB14_84 Depth=1
                                        ; implicit-def: $sgpr47
	s_and_b64 s[42:43], exec, s[38:39]
	s_or_b64 s[40:41], s[42:43], s[40:41]
	s_andn2_b64 exec, exec, s[40:41]
	s_cbranch_execnz .LBB14_84
.LBB14_89:
	s_or_b64 exec, exec, s[40:41]
	v_add_u32_e32 v5, v15, v6
	v_or_b32_e32 v5, 0x80000000, v5
	v_lshlrev_b32_e32 v8, 3, v2
	global_store_dword v[10:11], v5, off sc1
	global_load_dwordx2 v[10:11], v8, s[84:85]
	v_sub_co_u32_e64 v12, s[38:39], v15, v4
	v_mov_b32_e32 v5, 0
	s_nop 0
	v_subb_co_u32_e64 v13, s[38:39], 0, 0, s[38:39]
	v_cmp_gt_u32_e64 s[38:39], s90, v2
	s_waitcnt vmcnt(0)
	v_lshl_add_u64 v[10:11], v[12:13], 0, v[10:11]
	ds_write_b64 v8, v[10:11]
	s_waitcnt lgkmcnt(0)
	s_barrier
	s_and_saveexec_b64 s[40:41], s[38:39]
	s_cbranch_execz .LBB14_91
; %bb.90:
	v_mad_i32_i24 v9, v2, -6, v8
	ds_read_u16 v9, v9 offset:2048
	v_lshlrev_b32_e32 v12, 1, v2
	v_mov_b32_e32 v13, v5
	s_waitcnt lgkmcnt(0)
	v_lshrrev_b32_sdwa v10, s88, v9 dst_sel:DWORD dst_unused:UNUSED_PAD src0_sel:DWORD src1_sel:WORD_0
	v_and_b32_e32 v10, s96, v10
	v_lshlrev_b32_e32 v10, 3, v10
	ds_read_b64 v[10:11], v10
	v_xor_b32_e32 v9, -1, v9
	s_waitcnt lgkmcnt(0)
	v_lshl_add_u64 v[10:11], v[10:11], 1, s[78:79]
	v_lshl_add_u64 v[10:11], v[10:11], 0, v[12:13]
	global_store_short v[10:11], v9, off
.LBB14_91:
	s_or_b64 exec, exec, s[40:41]
	v_add_u32_e32 v9, 0x100, v2
	v_cmp_gt_u32_e64 s[40:41], s90, v9
	s_and_saveexec_b64 s[42:43], s[40:41]
	s_cbranch_execz .LBB14_93
; %bb.92:
	v_mad_i32_i24 v9, v2, -6, v8
	ds_read_u16 v9, v9 offset:2560
	v_lshlrev_b32_e32 v12, 1, v2
	v_mov_b32_e32 v13, 0
	s_waitcnt lgkmcnt(0)
	v_lshrrev_b32_sdwa v10, s88, v9 dst_sel:DWORD dst_unused:UNUSED_PAD src0_sel:DWORD src1_sel:WORD_0
	v_and_b32_e32 v10, s96, v10
	v_lshlrev_b32_e32 v10, 3, v10
	ds_read_b64 v[10:11], v10
	v_xor_b32_e32 v9, -1, v9
	s_waitcnt lgkmcnt(0)
	v_lshl_add_u64 v[10:11], v[10:11], 1, s[78:79]
	v_lshl_add_u64 v[10:11], v[10:11], 0, v[12:13]
	global_store_short v[10:11], v9, off offset:512
.LBB14_93:
	s_or_b64 exec, exec, s[42:43]
	v_add_u32_e32 v12, 0x200, v2
	v_cmp_gt_u32_e64 s[42:43], s90, v12
	s_and_saveexec_b64 s[44:45], s[42:43]
	s_cbranch_execz .LBB14_95
; %bb.94:
	v_mad_i32_i24 v9, v2, -6, v8
	ds_read_u16 v9, v9 offset:3072
	v_lshlrev_b32_e32 v16, 1, v2
	v_mov_b32_e32 v17, 0
	s_waitcnt lgkmcnt(0)
	v_lshrrev_b32_sdwa v10, s88, v9 dst_sel:DWORD dst_unused:UNUSED_PAD src0_sel:DWORD src1_sel:WORD_0
	v_and_b32_e32 v10, s96, v10
	v_lshlrev_b32_e32 v10, 3, v10
	ds_read_b64 v[10:11], v10
	v_xor_b32_e32 v9, -1, v9
	s_waitcnt lgkmcnt(0)
	v_lshl_add_u64 v[10:11], v[10:11], 1, s[78:79]
	v_lshl_add_u64 v[10:11], v[10:11], 0, v[16:17]
	global_store_short v[10:11], v9, off offset:1024
.LBB14_95:
	;; [unrolled: 21-line block ×3, first 2 shown]
	s_or_b64 exec, exec, s[46:47]
	v_or_b32_e32 v15, 0x400, v2
	v_cmp_gt_u32_e64 s[46:47], s90, v15
	s_and_saveexec_b64 s[48:49], s[46:47]
	s_cbranch_execz .LBB14_99
; %bb.98:
	v_mad_i32_i24 v9, v2, -6, v8
	ds_read_u16 v9, v9 offset:4096
	v_lshlrev_b32_e32 v16, 1, v2
	v_mov_b32_e32 v17, 0
	s_waitcnt lgkmcnt(0)
	v_lshrrev_b32_sdwa v10, s88, v9 dst_sel:DWORD dst_unused:UNUSED_PAD src0_sel:DWORD src1_sel:WORD_0
	v_and_b32_e32 v10, s96, v10
	v_lshlrev_b32_e32 v10, 3, v10
	ds_read_b64 v[10:11], v10
	v_xor_b32_e32 v9, -1, v9
	s_waitcnt lgkmcnt(0)
	v_lshl_add_u64 v[10:11], v[10:11], 1, s[78:79]
	v_lshl_add_u64 v[10:11], v[10:11], 0, v[16:17]
	global_store_short v[10:11], v9, off offset:2048
.LBB14_99:
	s_or_b64 exec, exec, s[48:49]
	v_add_u32_e32 v16, 0x500, v2
	v_cmp_gt_u32_e64 s[48:49], s90, v16
	s_and_saveexec_b64 s[50:51], s[48:49]
	s_cbranch_execz .LBB14_101
; %bb.100:
	v_mad_i32_i24 v9, v2, -6, v8
	ds_read_u16 v9, v9 offset:4608
	v_lshlrev_b32_e32 v20, 1, v2
	v_mov_b32_e32 v21, 0
	s_waitcnt lgkmcnt(0)
	v_lshrrev_b32_sdwa v10, s88, v9 dst_sel:DWORD dst_unused:UNUSED_PAD src0_sel:DWORD src1_sel:WORD_0
	v_and_b32_e32 v10, s96, v10
	v_lshlrev_b32_e32 v10, 3, v10
	ds_read_b64 v[10:11], v10
	v_xor_b32_e32 v9, -1, v9
	s_waitcnt lgkmcnt(0)
	v_lshl_add_u64 v[10:11], v[10:11], 1, s[78:79]
	v_lshl_add_u64 v[10:11], v[10:11], 0, v[20:21]
	global_store_short v[10:11], v9, off offset:2560
.LBB14_101:
	s_or_b64 exec, exec, s[50:51]
	v_add_u32_e32 v17, 0x600, v2
	;; [unrolled: 21-line block ×3, first 2 shown]
	v_cmp_gt_u32_e64 s[52:53], s90, v18
	s_and_saveexec_b64 s[54:55], s[52:53]
	s_cbranch_execz .LBB14_105
; %bb.104:
	v_lshlrev_b32_e32 v10, 1, v2
	ds_read_u16 v9, v10 offset:5632
	s_waitcnt lgkmcnt(0)
	v_lshrrev_b32_sdwa v11, s88, v9 dst_sel:DWORD dst_unused:UNUSED_PAD src0_sel:DWORD src1_sel:WORD_0
	v_and_b32_e32 v11, s96, v11
	v_lshlrev_b32_e32 v11, 3, v11
	ds_read_b64 v[20:21], v11
	v_mov_b32_e32 v11, 0
	v_xor_b32_e32 v9, -1, v9
	s_waitcnt lgkmcnt(0)
	v_lshl_add_u64 v[20:21], v[20:21], 1, s[78:79]
	v_lshl_add_u64 v[10:11], v[20:21], 0, v[10:11]
	global_store_short v[10:11], v9, off offset:3584
.LBB14_105:
	s_or_b64 exec, exec, s[54:55]
	v_or_b32_e32 v20, 0x800, v2
	v_cmp_gt_u32_e64 s[54:55], s90, v20
	s_and_saveexec_b64 s[56:57], s[54:55]
	s_cbranch_execz .LBB14_107
; %bb.106:
	v_lshlrev_b32_e32 v9, 1, v2
	ds_read_u16 v9, v9 offset:6144
	v_lshlrev_b32_e32 v22, 1, v20
	v_mov_b32_e32 v23, 0
	s_waitcnt lgkmcnt(0)
	v_lshrrev_b32_sdwa v10, s88, v9 dst_sel:DWORD dst_unused:UNUSED_PAD src0_sel:DWORD src1_sel:WORD_0
	v_and_b32_e32 v10, s96, v10
	v_lshlrev_b32_e32 v10, 3, v10
	ds_read_b64 v[10:11], v10
	v_xor_b32_e32 v9, -1, v9
	s_waitcnt lgkmcnt(0)
	v_lshl_add_u64 v[10:11], v[10:11], 1, s[78:79]
	v_lshl_add_u64 v[10:11], v[10:11], 0, v[22:23]
	global_store_short v[10:11], v9, off
.LBB14_107:
	s_or_b64 exec, exec, s[56:57]
	v_add_u32_e32 v21, 0x900, v2
	v_cmp_gt_u32_e64 s[56:57], s90, v21
	s_and_saveexec_b64 s[58:59], s[56:57]
	s_cbranch_execz .LBB14_109
; %bb.108:
	v_lshlrev_b32_e32 v9, 1, v2
	ds_read_u16 v9, v9 offset:6656
	v_lshlrev_b32_e32 v22, 1, v21
	v_mov_b32_e32 v23, 0
	s_waitcnt lgkmcnt(0)
	v_lshrrev_b32_sdwa v10, s88, v9 dst_sel:DWORD dst_unused:UNUSED_PAD src0_sel:DWORD src1_sel:WORD_0
	v_and_b32_e32 v10, s96, v10
	v_lshlrev_b32_e32 v10, 3, v10
	ds_read_b64 v[10:11], v10
	v_xor_b32_e32 v9, -1, v9
	s_waitcnt lgkmcnt(0)
	v_lshl_add_u64 v[10:11], v[10:11], 1, s[78:79]
	v_lshl_add_u64 v[10:11], v[10:11], 0, v[22:23]
	global_store_short v[10:11], v9, off
.LBB14_109:
	s_or_b64 exec, exec, s[58:59]
	v_add_u32_e32 v22, 0xa00, v2
	;; [unrolled: 21-line block ×3, first 2 shown]
	v_cmp_gt_u32_e64 s[60:61], s90, v23
	s_and_saveexec_b64 s[62:63], s[60:61]
	s_cbranch_execz .LBB14_113
; %bb.112:
	v_lshlrev_b32_e32 v9, 1, v2
	ds_read_u16 v9, v9 offset:7680
	v_lshlrev_b32_e32 v24, 1, v23
	v_mov_b32_e32 v25, 0
	s_waitcnt lgkmcnt(0)
	v_lshrrev_b32_sdwa v10, s88, v9 dst_sel:DWORD dst_unused:UNUSED_PAD src0_sel:DWORD src1_sel:WORD_0
	v_and_b32_e32 v10, s96, v10
	v_lshlrev_b32_e32 v10, 3, v10
	ds_read_b64 v[10:11], v10
	v_xor_b32_e32 v9, -1, v9
	s_waitcnt lgkmcnt(0)
	v_lshl_add_u64 v[10:11], v[10:11], 1, s[78:79]
	v_lshl_add_u64 v[10:11], v[10:11], 0, v[24:25]
	global_store_short v[10:11], v9, off
.LBB14_113:
	s_or_b64 exec, exec, s[62:63]
	v_or_b32_e32 v24, 0xc00, v2
	v_cmp_gt_u32_e64 s[62:63], s90, v24
	s_and_saveexec_b64 s[64:65], s[62:63]
	s_cbranch_execz .LBB14_115
; %bb.114:
	v_lshlrev_b32_e32 v9, 1, v2
	ds_read_u16 v9, v9 offset:8192
	v_lshlrev_b32_e32 v26, 1, v24
	v_mov_b32_e32 v27, 0
	s_waitcnt lgkmcnt(0)
	v_lshrrev_b32_sdwa v10, s88, v9 dst_sel:DWORD dst_unused:UNUSED_PAD src0_sel:DWORD src1_sel:WORD_0
	v_and_b32_e32 v10, s96, v10
	v_lshlrev_b32_e32 v10, 3, v10
	ds_read_b64 v[10:11], v10
	v_xor_b32_e32 v9, -1, v9
	s_waitcnt lgkmcnt(0)
	v_lshl_add_u64 v[10:11], v[10:11], 1, s[78:79]
	v_lshl_add_u64 v[10:11], v[10:11], 0, v[26:27]
	global_store_short v[10:11], v9, off
.LBB14_115:
	s_or_b64 exec, exec, s[64:65]
	v_add_u32_e32 v25, 0xd00, v2
	v_cmp_gt_u32_e64 s[64:65], s90, v25
	s_and_saveexec_b64 s[66:67], s[64:65]
	s_cbranch_execz .LBB14_117
; %bb.116:
	v_lshlrev_b32_e32 v9, 1, v2
	ds_read_u16 v9, v9 offset:8704
	v_lshlrev_b32_e32 v26, 1, v25
	v_mov_b32_e32 v27, 0
	s_waitcnt lgkmcnt(0)
	v_lshrrev_b32_sdwa v10, s88, v9 dst_sel:DWORD dst_unused:UNUSED_PAD src0_sel:DWORD src1_sel:WORD_0
	v_and_b32_e32 v10, s96, v10
	v_lshlrev_b32_e32 v10, 3, v10
	ds_read_b64 v[10:11], v10
	v_xor_b32_e32 v9, -1, v9
	s_waitcnt lgkmcnt(0)
	v_lshl_add_u64 v[10:11], v[10:11], 1, s[78:79]
	v_lshl_add_u64 v[10:11], v[10:11], 0, v[26:27]
	global_store_short v[10:11], v9, off
.LBB14_117:
	s_or_b64 exec, exec, s[66:67]
	v_add_u32_e32 v26, 0xe00, v2
	;; [unrolled: 21-line block ×3, first 2 shown]
	v_cmp_gt_u32_e64 s[68:69], s90, v27
	s_and_saveexec_b64 s[70:71], s[68:69]
	s_cbranch_execz .LBB14_121
; %bb.120:
	v_lshlrev_b32_e32 v9, 1, v2
	ds_read_u16 v9, v9 offset:9728
	v_lshlrev_b32_e32 v46, 1, v27
	v_mov_b32_e32 v47, 0
	s_waitcnt lgkmcnt(0)
	v_lshrrev_b32_sdwa v10, s88, v9 dst_sel:DWORD dst_unused:UNUSED_PAD src0_sel:DWORD src1_sel:WORD_0
	v_and_b32_e32 v10, s96, v10
	v_lshlrev_b32_e32 v10, 3, v10
	ds_read_b64 v[10:11], v10
	v_xor_b32_e32 v9, -1, v9
	s_waitcnt lgkmcnt(0)
	v_lshl_add_u64 v[10:11], v[10:11], 1, s[78:79]
	v_lshl_add_u64 v[10:11], v[10:11], 0, v[46:47]
	global_store_short v[10:11], v9, off
.LBB14_121:
	s_or_b64 exec, exec, s[70:71]
	v_or_b32_e32 v41, 0x1000, v2
	v_cmp_gt_u32_e64 s[70:71], s90, v41
	s_and_saveexec_b64 s[72:73], s[70:71]
	s_cbranch_execz .LBB14_123
; %bb.122:
	v_lshlrev_b32_e32 v9, 1, v2
	ds_read_u16 v9, v9 offset:10240
	v_lshlrev_b32_e32 v46, 1, v41
	v_mov_b32_e32 v47, 0
	s_waitcnt lgkmcnt(0)
	v_lshrrev_b32_sdwa v10, s88, v9 dst_sel:DWORD dst_unused:UNUSED_PAD src0_sel:DWORD src1_sel:WORD_0
	v_and_b32_e32 v10, s96, v10
	v_lshlrev_b32_e32 v10, 3, v10
	ds_read_b64 v[10:11], v10
	v_xor_b32_e32 v9, -1, v9
	s_waitcnt lgkmcnt(0)
	v_lshl_add_u64 v[10:11], v[10:11], 1, s[78:79]
	v_lshl_add_u64 v[10:11], v[10:11], 0, v[46:47]
	global_store_short v[10:11], v9, off
.LBB14_123:
	s_or_b64 exec, exec, s[72:73]
	v_add_u32_e32 v43, 0x1100, v2
	v_cmp_gt_u32_e64 s[72:73], s90, v43
	s_and_saveexec_b64 s[90:91], s[72:73]
	s_cbranch_execz .LBB14_125
; %bb.124:
	v_lshlrev_b32_e32 v9, 1, v2
	ds_read_u16 v9, v9 offset:10752
	v_lshlrev_b32_e32 v46, 1, v43
	v_mov_b32_e32 v47, 0
	s_waitcnt lgkmcnt(0)
	v_lshrrev_b32_sdwa v10, s88, v9 dst_sel:DWORD dst_unused:UNUSED_PAD src0_sel:DWORD src1_sel:WORD_0
	v_and_b32_e32 v10, s96, v10
	v_lshlrev_b32_e32 v10, 3, v10
	ds_read_b64 v[10:11], v10
	v_xor_b32_e32 v9, -1, v9
	s_waitcnt lgkmcnt(0)
	v_lshl_add_u64 v[10:11], v[10:11], 1, s[78:79]
	v_lshl_add_u64 v[10:11], v[10:11], 0, v[46:47]
	global_store_short v[10:11], v9, off
.LBB14_125:
	s_or_b64 exec, exec, s[90:91]
	s_lshl_b64 s[90:91], s[92:93], 3
	s_add_u32 s90, s80, s90
	s_addc_u32 s91, s81, s91
	v_lshlrev_b32_e32 v10, 3, v3
	v_mov_b32_e32 v11, 0
	v_lshl_add_u64 v[46:47], s[90:91], 0, v[10:11]
	v_lshlrev_b32_e32 v10, 3, v14
	v_lshl_add_u64 v[10:11], v[46:47], 0, v[10:11]
                                        ; implicit-def: $vgpr60_vgpr61
	s_and_saveexec_b64 s[90:91], vcc
	s_xor_b64 s[90:91], exec, s[90:91]
	s_cbranch_execz .LBB14_143
; %bb.126:
	global_load_dwordx2 v[60:61], v[10:11], off
	s_or_b64 exec, exec, s[90:91]
                                        ; implicit-def: $vgpr62_vgpr63
	s_and_saveexec_b64 s[90:91], s[74:75]
	s_cbranch_execnz .LBB14_144
.LBB14_127:
	s_or_b64 exec, exec, s[90:91]
                                        ; implicit-def: $vgpr64_vgpr65
	s_and_saveexec_b64 s[74:75], s[4:5]
	s_cbranch_execz .LBB14_145
.LBB14_128:
	global_load_dwordx2 v[64:65], v[10:11], off offset:1024
	s_or_b64 exec, exec, s[74:75]
                                        ; implicit-def: $vgpr66_vgpr67
	s_and_saveexec_b64 s[4:5], s[10:11]
	s_cbranch_execnz .LBB14_146
.LBB14_129:
	s_or_b64 exec, exec, s[4:5]
                                        ; implicit-def: $vgpr68_vgpr69
	s_and_saveexec_b64 s[4:5], s[16:17]
	s_cbranch_execz .LBB14_147
.LBB14_130:
	global_load_dwordx2 v[68:69], v[10:11], off offset:2048
	s_or_b64 exec, exec, s[4:5]
                                        ; implicit-def: $vgpr70_vgpr71
	s_and_saveexec_b64 s[4:5], s[20:21]
	s_cbranch_execnz .LBB14_148
.LBB14_131:
	s_or_b64 exec, exec, s[4:5]
                                        ; implicit-def: $vgpr72_vgpr73
	s_and_saveexec_b64 s[4:5], s[24:25]
	s_cbranch_execz .LBB14_149
.LBB14_132:
	global_load_dwordx2 v[72:73], v[10:11], off offset:3072
	s_or_b64 exec, exec, s[4:5]
                                        ; implicit-def: $vgpr74_vgpr75
	s_and_saveexec_b64 s[4:5], s[30:31]
	s_cbranch_execnz .LBB14_150
.LBB14_133:
	s_or_b64 exec, exec, s[4:5]
                                        ; implicit-def: $vgpr76_vgpr77
	s_and_saveexec_b64 s[4:5], s[36:37]
	s_cbranch_execz .LBB14_151
.LBB14_134:
	v_add_co_u32_e32 v46, vcc, 0x1000, v10
	s_nop 1
	v_addc_co_u32_e32 v47, vcc, 0, v11, vcc
	global_load_dwordx2 v[76:77], v[46:47], off
	s_or_b64 exec, exec, s[4:5]
                                        ; implicit-def: $vgpr78_vgpr79
	s_and_saveexec_b64 s[4:5], s[34:35]
	s_cbranch_execnz .LBB14_152
.LBB14_135:
	s_or_b64 exec, exec, s[4:5]
                                        ; implicit-def: $vgpr80_vgpr81
	s_and_saveexec_b64 s[4:5], s[28:29]
	s_cbranch_execz .LBB14_153
.LBB14_136:
	v_add_co_u32_e32 v46, vcc, 0x1000, v10
	s_nop 1
	v_addc_co_u32_e32 v47, vcc, 0, v11, vcc
	global_load_dwordx2 v[80:81], v[46:47], off offset:1024
	s_or_b64 exec, exec, s[4:5]
                                        ; implicit-def: $vgpr82_vgpr83
	s_and_saveexec_b64 s[4:5], s[26:27]
	s_cbranch_execnz .LBB14_154
.LBB14_137:
	s_or_b64 exec, exec, s[4:5]
                                        ; implicit-def: $vgpr84_vgpr85
	s_and_saveexec_b64 s[4:5], s[22:23]
	s_cbranch_execz .LBB14_155
.LBB14_138:
	v_add_co_u32_e32 v46, vcc, 0x1000, v10
	s_nop 1
	v_addc_co_u32_e32 v47, vcc, 0, v11, vcc
	global_load_dwordx2 v[84:85], v[46:47], off offset:2048
	s_or_b64 exec, exec, s[4:5]
                                        ; implicit-def: $vgpr86_vgpr87
	s_and_saveexec_b64 s[4:5], s[18:19]
	s_cbranch_execnz .LBB14_156
.LBB14_139:
	s_or_b64 exec, exec, s[4:5]
                                        ; implicit-def: $vgpr88_vgpr89
	s_and_saveexec_b64 s[4:5], s[14:15]
	s_cbranch_execz .LBB14_157
.LBB14_140:
	v_add_co_u32_e32 v46, vcc, 0x1000, v10
	s_nop 1
	v_addc_co_u32_e32 v47, vcc, 0, v11, vcc
	global_load_dwordx2 v[88:89], v[46:47], off offset:3072
	s_or_b64 exec, exec, s[4:5]
                                        ; implicit-def: $vgpr90_vgpr91
	s_and_saveexec_b64 s[4:5], s[12:13]
	s_cbranch_execnz .LBB14_158
.LBB14_141:
	s_or_b64 exec, exec, s[4:5]
                                        ; implicit-def: $vgpr92_vgpr93
	s_and_saveexec_b64 s[4:5], s[8:9]
	s_cbranch_execz .LBB14_159
.LBB14_142:
	v_add_co_u32_e32 v46, vcc, 0x2000, v10
	s_nop 1
	v_addc_co_u32_e32 v47, vcc, 0, v11, vcc
	global_load_dwordx2 v[92:93], v[46:47], off
	s_or_b64 exec, exec, s[4:5]
                                        ; implicit-def: $vgpr94_vgpr95
	s_and_saveexec_b64 s[4:5], s[6:7]
	s_cbranch_execnz .LBB14_160
	s_branch .LBB14_161
.LBB14_143:
	s_or_b64 exec, exec, s[90:91]
                                        ; implicit-def: $vgpr62_vgpr63
	s_and_saveexec_b64 s[90:91], s[74:75]
	s_cbranch_execz .LBB14_127
.LBB14_144:
	global_load_dwordx2 v[62:63], v[10:11], off offset:512
	s_or_b64 exec, exec, s[90:91]
                                        ; implicit-def: $vgpr64_vgpr65
	s_and_saveexec_b64 s[74:75], s[4:5]
	s_cbranch_execnz .LBB14_128
.LBB14_145:
	s_or_b64 exec, exec, s[74:75]
                                        ; implicit-def: $vgpr66_vgpr67
	s_and_saveexec_b64 s[4:5], s[10:11]
	s_cbranch_execz .LBB14_129
.LBB14_146:
	global_load_dwordx2 v[66:67], v[10:11], off offset:1536
	s_or_b64 exec, exec, s[4:5]
                                        ; implicit-def: $vgpr68_vgpr69
	s_and_saveexec_b64 s[4:5], s[16:17]
	s_cbranch_execnz .LBB14_130
.LBB14_147:
	s_or_b64 exec, exec, s[4:5]
                                        ; implicit-def: $vgpr70_vgpr71
	s_and_saveexec_b64 s[4:5], s[20:21]
	s_cbranch_execz .LBB14_131
.LBB14_148:
	global_load_dwordx2 v[70:71], v[10:11], off offset:2560
	s_or_b64 exec, exec, s[4:5]
                                        ; implicit-def: $vgpr72_vgpr73
	s_and_saveexec_b64 s[4:5], s[24:25]
	s_cbranch_execnz .LBB14_132
.LBB14_149:
	s_or_b64 exec, exec, s[4:5]
                                        ; implicit-def: $vgpr74_vgpr75
	s_and_saveexec_b64 s[4:5], s[30:31]
	s_cbranch_execz .LBB14_133
.LBB14_150:
	global_load_dwordx2 v[74:75], v[10:11], off offset:3584
	s_or_b64 exec, exec, s[4:5]
                                        ; implicit-def: $vgpr76_vgpr77
	s_and_saveexec_b64 s[4:5], s[36:37]
	s_cbranch_execnz .LBB14_134
.LBB14_151:
	s_or_b64 exec, exec, s[4:5]
                                        ; implicit-def: $vgpr78_vgpr79
	s_and_saveexec_b64 s[4:5], s[34:35]
	s_cbranch_execz .LBB14_135
.LBB14_152:
	v_add_co_u32_e32 v46, vcc, 0x1000, v10
	s_nop 1
	v_addc_co_u32_e32 v47, vcc, 0, v11, vcc
	global_load_dwordx2 v[78:79], v[46:47], off offset:512
	s_or_b64 exec, exec, s[4:5]
                                        ; implicit-def: $vgpr80_vgpr81
	s_and_saveexec_b64 s[4:5], s[28:29]
	s_cbranch_execnz .LBB14_136
.LBB14_153:
	s_or_b64 exec, exec, s[4:5]
                                        ; implicit-def: $vgpr82_vgpr83
	s_and_saveexec_b64 s[4:5], s[26:27]
	s_cbranch_execz .LBB14_137
.LBB14_154:
	v_add_co_u32_e32 v46, vcc, 0x1000, v10
	s_nop 1
	v_addc_co_u32_e32 v47, vcc, 0, v11, vcc
	global_load_dwordx2 v[82:83], v[46:47], off offset:1536
	s_or_b64 exec, exec, s[4:5]
                                        ; implicit-def: $vgpr84_vgpr85
	s_and_saveexec_b64 s[4:5], s[22:23]
	s_cbranch_execnz .LBB14_138
.LBB14_155:
	s_or_b64 exec, exec, s[4:5]
                                        ; implicit-def: $vgpr86_vgpr87
	s_and_saveexec_b64 s[4:5], s[18:19]
	s_cbranch_execz .LBB14_139
.LBB14_156:
	v_add_co_u32_e32 v46, vcc, 0x1000, v10
	s_nop 1
	v_addc_co_u32_e32 v47, vcc, 0, v11, vcc
	global_load_dwordx2 v[86:87], v[46:47], off offset:2560
	s_or_b64 exec, exec, s[4:5]
                                        ; implicit-def: $vgpr88_vgpr89
	s_and_saveexec_b64 s[4:5], s[14:15]
	s_cbranch_execnz .LBB14_140
.LBB14_157:
	s_or_b64 exec, exec, s[4:5]
                                        ; implicit-def: $vgpr90_vgpr91
	s_and_saveexec_b64 s[4:5], s[12:13]
	s_cbranch_execz .LBB14_141
.LBB14_158:
	v_add_co_u32_e32 v46, vcc, 0x1000, v10
	s_nop 1
	v_addc_co_u32_e32 v47, vcc, 0, v11, vcc
	global_load_dwordx2 v[90:91], v[46:47], off offset:3584
	s_or_b64 exec, exec, s[4:5]
                                        ; implicit-def: $vgpr92_vgpr93
	s_and_saveexec_b64 s[4:5], s[8:9]
	s_cbranch_execnz .LBB14_142
.LBB14_159:
	s_or_b64 exec, exec, s[4:5]
                                        ; implicit-def: $vgpr94_vgpr95
	s_and_saveexec_b64 s[4:5], s[6:7]
	s_cbranch_execz .LBB14_161
.LBB14_160:
	v_add_co_u32_e32 v10, vcc, 0x2000, v10
	s_nop 1
	v_addc_co_u32_e32 v11, vcc, 0, v11, vcc
	global_load_dwordx2 v[94:95], v[10:11], off offset:512
.LBB14_161:
	s_or_b64 exec, exec, s[4:5]
	v_mov_b32_e32 v56, 0
	v_mov_b32_e32 v9, 0
	s_and_saveexec_b64 s[4:5], s[38:39]
	s_cbranch_execz .LBB14_163
; %bb.162:
	v_lshlrev_b32_e32 v3, 1, v2
	ds_read_u16 v3, v3 offset:2048
	s_waitcnt lgkmcnt(0)
	v_lshrrev_b32_e32 v3, s88, v3
	v_and_b32_e32 v9, s96, v3
.LBB14_163:
	s_or_b64 exec, exec, s[4:5]
	s_and_saveexec_b64 s[4:5], s[40:41]
	s_cbranch_execz .LBB14_165
; %bb.164:
	v_lshlrev_b32_e32 v3, 1, v2
	ds_read_u16 v3, v3 offset:2560
	s_waitcnt lgkmcnt(0)
	v_lshrrev_b32_e32 v3, s88, v3
	v_and_b32_e32 v56, s96, v3
.LBB14_165:
	s_or_b64 exec, exec, s[4:5]
	v_mov_b32_e32 v54, 0
	v_mov_b32_e32 v58, 0
	s_and_saveexec_b64 s[4:5], s[42:43]
	s_cbranch_execz .LBB14_167
; %bb.166:
	v_lshlrev_b32_e32 v3, 1, v2
	ds_read_u16 v3, v3 offset:3072
	s_waitcnt lgkmcnt(0)
	v_lshrrev_b32_e32 v3, s88, v3
	v_and_b32_e32 v58, s96, v3
.LBB14_167:
	s_or_b64 exec, exec, s[4:5]
	s_and_saveexec_b64 s[4:5], s[44:45]
	s_cbranch_execz .LBB14_169
; %bb.168:
	v_lshlrev_b32_e32 v3, 1, v2
	ds_read_u16 v3, v3 offset:3584
	s_waitcnt lgkmcnt(0)
	v_lshrrev_b32_e32 v3, s88, v3
	v_and_b32_e32 v54, s96, v3
.LBB14_169:
	s_or_b64 exec, exec, s[4:5]
	v_mov_b32_e32 v52, 0
	v_mov_b32_e32 v57, 0
	s_and_saveexec_b64 s[4:5], s[46:47]
	s_cbranch_execz .LBB14_171
; %bb.170:
	v_lshlrev_b32_e32 v3, 1, v2
	ds_read_u16 v3, v3 offset:4096
	s_waitcnt lgkmcnt(0)
	v_lshrrev_b32_e32 v3, s88, v3
	v_and_b32_e32 v57, s96, v3
.LBB14_171:
	s_or_b64 exec, exec, s[4:5]
	s_and_saveexec_b64 s[4:5], s[48:49]
	s_cbranch_execz .LBB14_173
; %bb.172:
	v_lshlrev_b32_e32 v3, 1, v2
	ds_read_u16 v3, v3 offset:4608
	s_waitcnt lgkmcnt(0)
	v_lshrrev_b32_e32 v3, s88, v3
	v_and_b32_e32 v52, s96, v3
.LBB14_173:
	s_or_b64 exec, exec, s[4:5]
	v_mov_b32_e32 v50, 0
	v_mov_b32_e32 v55, 0
	s_and_saveexec_b64 s[4:5], s[50:51]
	s_cbranch_execz .LBB14_175
; %bb.174:
	v_lshlrev_b32_e32 v3, 1, v2
	ds_read_u16 v3, v3 offset:5120
	s_waitcnt lgkmcnt(0)
	v_lshrrev_b32_e32 v3, s88, v3
	v_and_b32_e32 v55, s96, v3
.LBB14_175:
	s_or_b64 exec, exec, s[4:5]
	s_and_saveexec_b64 s[4:5], s[52:53]
	s_cbranch_execz .LBB14_177
; %bb.176:
	v_lshlrev_b32_e32 v3, 1, v2
	ds_read_u16 v3, v3 offset:5632
	s_waitcnt lgkmcnt(0)
	v_lshrrev_b32_e32 v3, s88, v3
	v_and_b32_e32 v50, s96, v3
.LBB14_177:
	s_or_b64 exec, exec, s[4:5]
	v_mov_b32_e32 v47, 0
	v_mov_b32_e32 v53, 0
	s_and_saveexec_b64 s[4:5], s[54:55]
	s_cbranch_execz .LBB14_179
; %bb.178:
	v_lshlrev_b32_e32 v3, 1, v2
	ds_read_u16 v3, v3 offset:6144
	s_waitcnt lgkmcnt(0)
	v_lshrrev_b32_e32 v3, s88, v3
	v_and_b32_e32 v53, s96, v3
.LBB14_179:
	s_or_b64 exec, exec, s[4:5]
	s_and_saveexec_b64 s[4:5], s[56:57]
	s_cbranch_execz .LBB14_181
; %bb.180:
	v_lshlrev_b32_e32 v3, 1, v2
	ds_read_u16 v3, v3 offset:6656
	s_waitcnt lgkmcnt(0)
	v_lshrrev_b32_e32 v3, s88, v3
	v_and_b32_e32 v47, s96, v3
.LBB14_181:
	s_or_b64 exec, exec, s[4:5]
	v_mov_b32_e32 v44, 0
	v_mov_b32_e32 v51, 0
	s_and_saveexec_b64 s[4:5], s[58:59]
	s_cbranch_execz .LBB14_183
; %bb.182:
	v_lshlrev_b32_e32 v3, 1, v2
	ds_read_u16 v3, v3 offset:7168
	s_waitcnt lgkmcnt(0)
	v_lshrrev_b32_e32 v3, s88, v3
	v_and_b32_e32 v51, s96, v3
.LBB14_183:
	s_or_b64 exec, exec, s[4:5]
	s_and_saveexec_b64 s[4:5], s[60:61]
	s_cbranch_execz .LBB14_185
; %bb.184:
	v_lshlrev_b32_e32 v3, 1, v2
	ds_read_u16 v3, v3 offset:7680
	s_waitcnt lgkmcnt(0)
	v_lshrrev_b32_e32 v3, s88, v3
	v_and_b32_e32 v44, s96, v3
.LBB14_185:
	s_or_b64 exec, exec, s[4:5]
	v_mov_b32_e32 v11, 0
	v_mov_b32_e32 v49, 0
	s_and_saveexec_b64 s[4:5], s[62:63]
	s_cbranch_execz .LBB14_187
; %bb.186:
	v_lshlrev_b32_e32 v3, 1, v2
	ds_read_u16 v3, v3 offset:8192
	s_waitcnt lgkmcnt(0)
	v_lshrrev_b32_e32 v3, s88, v3
	v_and_b32_e32 v49, s96, v3
.LBB14_187:
	s_or_b64 exec, exec, s[4:5]
	s_and_saveexec_b64 s[4:5], s[64:65]
	s_cbranch_execz .LBB14_189
; %bb.188:
	v_lshlrev_b32_e32 v3, 1, v2
	ds_read_u16 v3, v3 offset:8704
	s_waitcnt lgkmcnt(0)
	v_lshrrev_b32_e32 v3, s88, v3
	v_and_b32_e32 v11, s96, v3
.LBB14_189:
	s_or_b64 exec, exec, s[4:5]
	v_mov_b32_e32 v10, 0
	v_mov_b32_e32 v46, 0
	s_and_saveexec_b64 s[4:5], s[66:67]
	s_cbranch_execz .LBB14_191
; %bb.190:
	v_lshlrev_b32_e32 v3, 1, v2
	ds_read_u16 v3, v3 offset:9216
	s_waitcnt lgkmcnt(0)
	v_lshrrev_b32_e32 v3, s88, v3
	v_and_b32_e32 v46, s96, v3
.LBB14_191:
	s_or_b64 exec, exec, s[4:5]
	s_and_saveexec_b64 s[4:5], s[68:69]
	s_cbranch_execz .LBB14_193
; %bb.192:
	v_lshlrev_b32_e32 v3, 1, v2
	ds_read_u16 v3, v3 offset:9728
	s_waitcnt lgkmcnt(0)
	v_lshrrev_b32_e32 v3, s88, v3
	v_and_b32_e32 v10, s96, v3
.LBB14_193:
	s_or_b64 exec, exec, s[4:5]
	v_mov_b32_e32 v3, 0
	v_mov_b32_e32 v14, 0
	s_and_saveexec_b64 s[4:5], s[70:71]
	s_cbranch_execz .LBB14_195
; %bb.194:
	v_lshlrev_b32_e32 v14, 1, v2
	ds_read_u16 v14, v14 offset:10240
	s_waitcnt lgkmcnt(0)
	v_lshrrev_b32_e32 v14, s88, v14
	v_and_b32_e32 v14, s96, v14
.LBB14_195:
	s_or_b64 exec, exec, s[4:5]
	s_and_saveexec_b64 s[4:5], s[72:73]
	s_cbranch_execz .LBB14_197
; %bb.196:
	v_lshlrev_b32_e32 v2, 1, v2
	ds_read_u16 v2, v2 offset:10752
	s_waitcnt lgkmcnt(0)
	v_lshrrev_b32_e32 v2, s88, v2
	v_and_b32_e32 v3, s96, v2
.LBB14_197:
	s_or_b64 exec, exec, s[4:5]
	v_lshlrev_b32_e32 v2, 3, v48
	s_barrier
	s_waitcnt vmcnt(0)
	ds_write_b64 v2, v[60:61] offset:2048
	v_lshlrev_b32_e32 v2, 3, v45
	ds_write_b64 v2, v[62:63] offset:2048
	v_lshlrev_b32_e32 v2, 3, v42
	;; [unrolled: 2-line block ×17, first 2 shown]
	ds_write_b64 v2, v[94:95] offset:2048
	s_waitcnt lgkmcnt(0)
	s_barrier
	s_and_saveexec_b64 s[4:5], s[38:39]
	s_cbranch_execz .LBB14_274
; %bb.198:
	v_lshlrev_b32_e32 v2, 3, v9
	ds_read_b64 v[28:29], v2
	ds_read_b64 v[30:31], v8 offset:2048
	v_mov_b32_e32 v9, 0
	s_waitcnt lgkmcnt(1)
	v_lshl_add_u64 v[28:29], v[28:29], 3, s[82:83]
	v_lshl_add_u64 v[28:29], v[28:29], 0, v[8:9]
	s_waitcnt lgkmcnt(0)
	global_store_dwordx2 v[28:29], v[30:31], off
	s_or_b64 exec, exec, s[4:5]
	s_and_saveexec_b64 s[4:5], s[40:41]
	s_cbranch_execnz .LBB14_275
.LBB14_199:
	s_or_b64 exec, exec, s[4:5]
	s_and_saveexec_b64 s[4:5], s[42:43]
	s_cbranch_execz .LBB14_276
.LBB14_200:
	v_lshlrev_b32_e32 v2, 3, v58
	ds_read_b64 v[28:29], v2
	ds_read_b64 v[30:31], v8 offset:6144
	v_lshlrev_b32_e32 v32, 3, v12
	v_mov_b32_e32 v33, 0
	s_waitcnt lgkmcnt(1)
	v_lshl_add_u64 v[28:29], v[28:29], 3, s[82:83]
	v_lshl_add_u64 v[28:29], v[28:29], 0, v[32:33]
	s_waitcnt lgkmcnt(0)
	global_store_dwordx2 v[28:29], v[30:31], off
	s_or_b64 exec, exec, s[4:5]
	s_and_saveexec_b64 s[4:5], s[44:45]
	s_cbranch_execnz .LBB14_277
.LBB14_201:
	s_or_b64 exec, exec, s[4:5]
	s_and_saveexec_b64 s[4:5], s[46:47]
	s_cbranch_execz .LBB14_278
.LBB14_202:
	v_lshlrev_b32_e32 v2, 3, v57
	ds_read_b64 v[12:13], v2
	ds_read_b64 v[28:29], v8 offset:10240
	v_lshlrev_b32_e32 v30, 3, v15
	v_mov_b32_e32 v31, 0
	s_waitcnt lgkmcnt(1)
	v_lshl_add_u64 v[12:13], v[12:13], 3, s[82:83]
	v_lshl_add_u64 v[12:13], v[12:13], 0, v[30:31]
	s_waitcnt lgkmcnt(0)
	global_store_dwordx2 v[12:13], v[28:29], off
	s_or_b64 exec, exec, s[4:5]
	s_and_saveexec_b64 s[4:5], s[48:49]
	s_cbranch_execnz .LBB14_279
.LBB14_203:
	s_or_b64 exec, exec, s[4:5]
	s_and_saveexec_b64 s[4:5], s[50:51]
	s_cbranch_execz .LBB14_280
.LBB14_204:
	v_lshlrev_b32_e32 v2, 3, v55
	ds_read_b64 v[12:13], v2
	ds_read_b64 v[28:29], v8 offset:14336
	v_lshlrev_b32_e32 v16, 3, v17
	v_mov_b32_e32 v17, 0
	s_waitcnt lgkmcnt(1)
	v_lshl_add_u64 v[12:13], v[12:13], 3, s[82:83]
	v_lshl_add_u64 v[12:13], v[12:13], 0, v[16:17]
	s_waitcnt lgkmcnt(0)
	global_store_dwordx2 v[12:13], v[28:29], off
	s_or_b64 exec, exec, s[4:5]
	s_and_saveexec_b64 s[4:5], s[52:53]
	s_cbranch_execnz .LBB14_281
.LBB14_205:
	s_or_b64 exec, exec, s[4:5]
	s_and_saveexec_b64 s[4:5], s[54:55]
	s_cbranch_execz .LBB14_282
.LBB14_206:
	v_lshlrev_b32_e32 v2, 3, v53
	ds_read_b64 v[12:13], v2
	ds_read_b64 v[16:17], v8 offset:18432
	v_lshlrev_b32_e32 v18, 3, v20
	v_mov_b32_e32 v19, 0
	s_waitcnt lgkmcnt(1)
	v_lshl_add_u64 v[12:13], v[12:13], 3, s[82:83]
	v_lshl_add_u64 v[12:13], v[12:13], 0, v[18:19]
	s_waitcnt lgkmcnt(0)
	global_store_dwordx2 v[12:13], v[16:17], off
	s_or_b64 exec, exec, s[4:5]
	s_and_saveexec_b64 s[4:5], s[56:57]
	s_cbranch_execnz .LBB14_283
.LBB14_207:
	s_or_b64 exec, exec, s[4:5]
	s_and_saveexec_b64 s[4:5], s[58:59]
	s_cbranch_execz .LBB14_284
.LBB14_208:
	v_lshlrev_b32_e32 v2, 3, v51
	ds_read_b64 v[12:13], v2
	ds_read_b64 v[16:17], v8 offset:22528
	v_lshlrev_b32_e32 v18, 3, v22
	v_mov_b32_e32 v19, 0
	s_waitcnt lgkmcnt(1)
	v_lshl_add_u64 v[12:13], v[12:13], 3, s[82:83]
	v_lshl_add_u64 v[12:13], v[12:13], 0, v[18:19]
	s_waitcnt lgkmcnt(0)
	global_store_dwordx2 v[12:13], v[16:17], off
	s_or_b64 exec, exec, s[4:5]
	s_and_saveexec_b64 s[4:5], s[60:61]
	s_cbranch_execnz .LBB14_285
.LBB14_209:
	s_or_b64 exec, exec, s[4:5]
	s_and_saveexec_b64 s[4:5], s[62:63]
	s_cbranch_execz .LBB14_286
.LBB14_210:
	v_lshlrev_b32_e32 v2, 3, v49
	ds_read_b64 v[12:13], v2
	ds_read_b64 v[16:17], v8 offset:26624
	v_lshlrev_b32_e32 v18, 3, v24
	v_mov_b32_e32 v19, 0
	s_waitcnt lgkmcnt(1)
	v_lshl_add_u64 v[12:13], v[12:13], 3, s[82:83]
	v_lshl_add_u64 v[12:13], v[12:13], 0, v[18:19]
	s_waitcnt lgkmcnt(0)
	global_store_dwordx2 v[12:13], v[16:17], off
	s_or_b64 exec, exec, s[4:5]
	s_and_saveexec_b64 s[4:5], s[64:65]
	s_cbranch_execnz .LBB14_287
.LBB14_211:
	s_or_b64 exec, exec, s[4:5]
	s_and_saveexec_b64 s[4:5], s[66:67]
	s_cbranch_execz .LBB14_288
.LBB14_212:
	v_lshlrev_b32_e32 v2, 3, v46
	ds_read_b64 v[12:13], v2
	ds_read_b64 v[16:17], v8 offset:30720
	v_lshlrev_b32_e32 v18, 3, v26
	v_mov_b32_e32 v19, 0
	s_waitcnt lgkmcnt(1)
	v_lshl_add_u64 v[12:13], v[12:13], 3, s[82:83]
	v_lshl_add_u64 v[12:13], v[12:13], 0, v[18:19]
	s_waitcnt lgkmcnt(0)
	global_store_dwordx2 v[12:13], v[16:17], off
	s_or_b64 exec, exec, s[4:5]
	s_and_saveexec_b64 s[4:5], s[68:69]
	s_cbranch_execnz .LBB14_289
.LBB14_213:
	s_or_b64 exec, exec, s[4:5]
	s_and_saveexec_b64 s[4:5], s[70:71]
	s_cbranch_execz .LBB14_290
.LBB14_214:
	v_lshlrev_b32_e32 v2, 3, v14
	ds_read_b64 v[10:11], v2
	ds_read_b64 v[12:13], v8 offset:34816
	v_lshlrev_b32_e32 v14, 3, v41
	v_mov_b32_e32 v15, 0
	s_waitcnt lgkmcnt(1)
	v_lshl_add_u64 v[10:11], v[10:11], 3, s[82:83]
	v_lshl_add_u64 v[10:11], v[10:11], 0, v[14:15]
	s_waitcnt lgkmcnt(0)
	global_store_dwordx2 v[10:11], v[12:13], off
	s_or_b64 exec, exec, s[4:5]
	s_and_saveexec_b64 s[4:5], s[72:73]
	s_cbranch_execnz .LBB14_291
.LBB14_215:
	s_or_b64 exec, exec, s[4:5]
	s_add_i32 s33, s33, -1
	s_cmp_eq_u32 s2, s33
	s_cbranch_scc0 .LBB14_217
.LBB14_216:
	ds_read_b64 v[2:3], v8
	v_mov_b32_e32 v7, 0
	v_lshl_add_u64 v[4:5], v[6:7], 0, v[4:5]
	s_waitcnt lgkmcnt(0)
	v_lshl_add_u64 v[2:3], v[4:5], 0, v[2:3]
	global_store_dwordx2 v8, v[2:3], s[86:87]
.LBB14_217:
	s_mov_b64 s[4:5], 0
.LBB14_218:
	s_and_b64 vcc, exec, s[4:5]
	s_cbranch_vccz .LBB14_273
; %bb.219:
	s_mov_b32 s93, 0
	s_lshl_b64 s[4:5], s[92:93], 1
	s_add_u32 s4, s76, s4
	v_mbcnt_hi_u32_b32 v12, -1, v1
	s_addc_u32 s5, s77, s5
	v_mov_b32_e32 v5, 0
	v_lshlrev_b32_e32 v4, 1, v12
	v_lshl_add_u64 v[6:7], s[4:5], 0, v[4:5]
	s_load_dword s8, s[0:1], 0x50
	s_load_dword s4, s[0:1], 0x5c
	v_and_b32_e32 v8, 0xc0, v0
	v_mul_u32_u24_e32 v3, 18, v8
	s_add_u32 s0, s0, 0x50
	v_lshlrev_b32_e32 v4, 1, v3
	s_addc_u32 s1, s1, 0
	s_waitcnt lgkmcnt(0)
	s_lshr_b32 s4, s4, 16
	v_lshl_add_u64 v[16:17], v[6:7], 0, v[4:5]
	s_cmp_lt_u32 s2, s8
	global_load_ushort v1, v[16:17], off
	s_cselect_b32 s5, 12, 18
	s_add_u32 s0, s0, s5
	s_addc_u32 s1, s1, 0
	global_load_ushort v9, v5, s[0:1]
	v_and_b32_e32 v2, 0x3ff, v0
	v_mul_u32_u24_e32 v6, 20, v2
	ds_write2_b32 v6, v5, v5 offset0:4 offset1:5
	ds_write2_b32 v6, v5, v5 offset0:6 offset1:7
	ds_write_b32 v6, v5 offset:32
	global_load_ushort v10, v[16:17], off offset:128
	global_load_ushort v15, v[16:17], off offset:256
	;; [unrolled: 1-line block ×17, first 2 shown]
	v_bfe_u32 v4, v0, 10, 10
	v_bfe_u32 v7, v0, 20, 10
	v_mad_u32_u24 v11, v7, s4, v4
	s_lshl_b32 s0, -1, s89
	v_mov_b32_e32 v0, v5
	s_not_b32 s9, s0
	v_mov_b32_e32 v22, v5
	v_mov_b32_e32 v28, v5
	s_waitcnt lgkmcnt(0)
	s_barrier
	s_waitcnt vmcnt(18)
	; wave barrier
	v_xor_b32_e32 v7, -1, v1
	v_lshrrev_b32_sdwa v1, s88, v7 dst_sel:DWORD dst_unused:UNUSED_PAD src0_sel:DWORD src1_sel:WORD_0
	v_bitop3_b32 v13, v1, s0, v1 bitop3:0x30
	v_and_b32_e32 v4, 1, v13
	v_lshlrev_b32_e32 v1, 30, v13
	s_waitcnt vmcnt(17)
	v_mad_u64_u32 v[32:33], s[0:1], v11, v9, v[2:3]
	v_lshlrev_b32_e32 v23, 29, v13
	v_lshl_add_u64 v[38:39], v[4:5], 0, -1
	v_cmp_ne_u32_e32 vcc, 0, v4
	v_cmp_gt_i64_e64 s[0:1], 0, v[0:1]
	v_not_b32_e32 v0, v1
	v_lshlrev_b32_e32 v29, 28, v13
	v_not_b32_e32 v1, v23
	v_xor_b32_e32 v14, vcc_lo, v38
	v_ashrrev_i32_e32 v0, 31, v0
	v_cmp_gt_i64_e64 s[4:5], 0, v[22:23]
	v_not_b32_e32 v4, v29
	v_ashrrev_i32_e32 v1, 31, v1
	v_and_b32_e32 v14, exec_lo, v14
	v_xor_b32_e32 v16, s1, v0
	v_xor_b32_e32 v0, s0, v0
	v_cmp_gt_i64_e64 s[6:7], 0, v[28:29]
	v_xor_b32_e32 v11, vcc_hi, v39
	v_ashrrev_i32_e32 v4, 31, v4
	v_xor_b32_e32 v18, s5, v1
	v_xor_b32_e32 v1, s4, v1
	v_and_b32_e32 v0, v14, v0
	v_lshlrev_b32_e32 v17, 27, v13
	v_and_b32_e32 v11, exec_hi, v11
	v_xor_b32_e32 v22, s7, v4
	v_xor_b32_e32 v4, s6, v4
	v_and_b32_e32 v0, v0, v1
	v_and_b32_e32 v11, v11, v16
	;; [unrolled: 1-line block ×3, first 2 shown]
	v_mov_b32_e32 v16, v5
	v_not_b32_e32 v4, v17
	v_and_b32_e32 v11, v11, v18
	v_cmp_gt_i64_e32 vcc, 0, v[16:17]
	v_ashrrev_i32_e32 v4, 31, v4
	v_and_b32_e32 v1, v11, v22
	v_xor_b32_e32 v11, vcc_hi, v4
	v_xor_b32_e32 v4, vcc_lo, v4
	v_and_b32_e32 v11, v1, v11
	v_and_b32_e32 v4, v0, v4
	v_lshlrev_b32_e32 v1, 26, v13
	v_mov_b32_e32 v0, v5
	v_cmp_gt_i64_e32 vcc, 0, v[0:1]
	v_not_b32_e32 v0, v1
	v_ashrrev_i32_e32 v0, 31, v0
	v_xor_b32_e32 v1, vcc_hi, v0
	v_xor_b32_e32 v0, vcc_lo, v0
	v_and_b32_e32 v11, v11, v1
	v_and_b32_e32 v4, v4, v0
	v_lshlrev_b32_e32 v1, 25, v13
	v_mov_b32_e32 v0, v5
	v_cmp_gt_i64_e32 vcc, 0, v[0:1]
	v_not_b32_e32 v0, v1
	v_ashrrev_i32_e32 v0, 31, v0
	v_xor_b32_e32 v1, vcc_hi, v0
	v_xor_b32_e32 v0, vcc_lo, v0
	v_and_b32_e32 v11, v11, v1
	v_and_b32_e32 v4, v4, v0
	v_lshlrev_b32_e32 v1, 24, v13
	v_mov_b32_e32 v0, v5
	v_cmp_gt_i64_e32 vcc, 0, v[0:1]
	v_not_b32_e32 v0, v1
	v_ashrrev_i32_e32 v0, 31, v0
	v_xor_b32_e32 v1, vcc_hi, v0
	v_xor_b32_e32 v0, vcc_lo, v0
	v_and_b32_e32 v0, v4, v0
	v_and_b32_e32 v1, v11, v1
	v_mbcnt_lo_u32_b32 v4, v0, 0
	v_lshrrev_b32_e32 v9, 6, v32
	v_mbcnt_hi_u32_b32 v11, v1, v4
	v_lshlrev_b32_e32 v20, 2, v9
	v_cmp_eq_u32_e32 vcc, 0, v11
	v_cmp_ne_u64_e64 s[0:1], 0, v[0:1]
	v_mad_u32_u24 v9, v13, 20, v20
	s_and_b64 s[4:5], s[0:1], vcc
	s_and_saveexec_b64 s[0:1], s[4:5]
; %bb.220:
	v_bcnt_u32_b32 v0, v0, 0
	v_bcnt_u32_b32 v0, v1, v0
	ds_write_b32 v9, v0 offset:16
; %bb.221:
	s_or_b64 exec, exec, s[0:1]
	s_waitcnt vmcnt(16)
	v_xor_b32_e32 v10, -1, v10
	v_lshrrev_b32_sdwa v0, s88, v10 dst_sel:DWORD dst_unused:UNUSED_PAD src0_sel:DWORD src1_sel:WORD_0
	v_and_b32_e32 v16, s9, v0
	v_and_b32_e32 v4, 1, v16
	v_lshl_add_u64 v[0:1], v[4:5], 0, -1
	v_cmp_ne_u32_e32 vcc, 0, v4
	v_mad_u32_u24 v14, v16, 20, v20
	s_nop 0
	v_xor_b32_e32 v1, vcc_hi, v1
	v_xor_b32_e32 v0, vcc_lo, v0
	v_and_b32_e32 v4, exec_hi, v1
	v_and_b32_e32 v17, exec_lo, v0
	v_lshlrev_b32_e32 v1, 30, v16
	v_mov_b32_e32 v0, v5
	v_cmp_gt_i64_e32 vcc, 0, v[0:1]
	v_not_b32_e32 v0, v1
	v_ashrrev_i32_e32 v0, 31, v0
	v_xor_b32_e32 v1, vcc_hi, v0
	v_xor_b32_e32 v0, vcc_lo, v0
	v_and_b32_e32 v4, v4, v1
	v_and_b32_e32 v17, v17, v0
	v_lshlrev_b32_e32 v1, 29, v16
	v_mov_b32_e32 v0, v5
	v_cmp_gt_i64_e32 vcc, 0, v[0:1]
	v_not_b32_e32 v0, v1
	v_ashrrev_i32_e32 v0, 31, v0
	v_xor_b32_e32 v1, vcc_hi, v0
	v_xor_b32_e32 v0, vcc_lo, v0
	v_and_b32_e32 v4, v4, v1
	v_and_b32_e32 v17, v17, v0
	;; [unrolled: 9-line block ×6, first 2 shown]
	v_lshlrev_b32_e32 v1, 24, v16
	v_mov_b32_e32 v0, v5
	v_cmp_gt_i64_e32 vcc, 0, v[0:1]
	v_not_b32_e32 v0, v1
	v_ashrrev_i32_e32 v0, 31, v0
	v_xor_b32_e32 v1, vcc_hi, v0
	v_xor_b32_e32 v0, vcc_lo, v0
	; wave barrier
	ds_read_b32 v13, v14 offset:16
	v_and_b32_e32 v0, v17, v0
	v_and_b32_e32 v1, v4, v1
	v_mbcnt_lo_u32_b32 v4, v0, 0
	v_mbcnt_hi_u32_b32 v16, v1, v4
	v_cmp_eq_u32_e32 vcc, 0, v16
	v_cmp_ne_u64_e64 s[0:1], 0, v[0:1]
	s_and_b64 s[4:5], s[0:1], vcc
	; wave barrier
	s_and_saveexec_b64 s[0:1], s[4:5]
	s_cbranch_execz .LBB14_223
; %bb.222:
	v_bcnt_u32_b32 v0, v0, 0
	v_bcnt_u32_b32 v0, v1, v0
	s_waitcnt lgkmcnt(0)
	v_add_u32_e32 v0, v13, v0
	ds_write_b32 v14, v0 offset:16
.LBB14_223:
	s_or_b64 exec, exec, s[0:1]
	s_waitcnt vmcnt(15)
	v_xor_b32_e32 v15, -1, v15
	v_lshrrev_b32_sdwa v0, s88, v15 dst_sel:DWORD dst_unused:UNUSED_PAD src0_sel:DWORD src1_sel:WORD_0
	v_and_b32_e32 v22, s9, v0
	v_and_b32_e32 v0, 1, v22
	v_mov_b32_e32 v1, 0
	v_lshl_add_u64 v[4:5], v[0:1], 0, -1
	v_cmp_ne_u32_e32 vcc, 0, v0
	v_mad_u32_u24 v18, v22, 20, v20
	s_nop 0
	v_xor_b32_e32 v4, vcc_lo, v4
	v_xor_b32_e32 v0, vcc_hi, v5
	v_and_b32_e32 v23, exec_lo, v4
	v_lshlrev_b32_e32 v5, 30, v22
	v_mov_b32_e32 v4, v1
	v_cmp_gt_i64_e32 vcc, 0, v[4:5]
	v_not_b32_e32 v4, v5
	v_ashrrev_i32_e32 v4, 31, v4
	v_and_b32_e32 v0, exec_hi, v0
	v_xor_b32_e32 v5, vcc_hi, v4
	v_xor_b32_e32 v4, vcc_lo, v4
	v_and_b32_e32 v0, v0, v5
	v_and_b32_e32 v23, v23, v4
	v_lshlrev_b32_e32 v5, 29, v22
	v_mov_b32_e32 v4, v1
	v_cmp_gt_i64_e32 vcc, 0, v[4:5]
	v_not_b32_e32 v4, v5
	v_ashrrev_i32_e32 v4, 31, v4
	v_xor_b32_e32 v5, vcc_hi, v4
	v_xor_b32_e32 v4, vcc_lo, v4
	v_and_b32_e32 v0, v0, v5
	v_and_b32_e32 v23, v23, v4
	v_lshlrev_b32_e32 v5, 28, v22
	v_mov_b32_e32 v4, v1
	v_cmp_gt_i64_e32 vcc, 0, v[4:5]
	v_not_b32_e32 v4, v5
	v_ashrrev_i32_e32 v4, 31, v4
	;; [unrolled: 9-line block ×6, first 2 shown]
	v_xor_b32_e32 v5, vcc_hi, v4
	v_xor_b32_e32 v4, vcc_lo, v4
	; wave barrier
	ds_read_b32 v17, v18 offset:16
	v_and_b32_e32 v4, v23, v4
	v_and_b32_e32 v5, v0, v5
	v_mbcnt_lo_u32_b32 v0, v4, 0
	v_mbcnt_hi_u32_b32 v22, v5, v0
	v_cmp_eq_u32_e32 vcc, 0, v22
	v_cmp_ne_u64_e64 s[0:1], 0, v[4:5]
	s_and_b64 s[4:5], s[0:1], vcc
	; wave barrier
	s_and_saveexec_b64 s[0:1], s[4:5]
	s_cbranch_execz .LBB14_225
; %bb.224:
	v_bcnt_u32_b32 v0, v4, 0
	v_bcnt_u32_b32 v0, v5, v0
	s_waitcnt lgkmcnt(0)
	v_add_u32_e32 v0, v17, v0
	ds_write_b32 v18, v0 offset:16
.LBB14_225:
	s_or_b64 exec, exec, s[0:1]
	s_waitcnt vmcnt(14)
	v_xor_b32_e32 v21, -1, v21
	v_lshrrev_b32_sdwa v0, s88, v21 dst_sel:DWORD dst_unused:UNUSED_PAD src0_sel:DWORD src1_sel:WORD_0
	v_and_b32_e32 v27, s9, v0
	v_and_b32_e32 v0, 1, v27
	v_lshl_add_u64 v[4:5], v[0:1], 0, -1
	v_cmp_ne_u32_e32 vcc, 0, v0
	v_mad_u32_u24 v24, v27, 20, v20
	s_nop 0
	v_xor_b32_e32 v4, vcc_lo, v4
	v_xor_b32_e32 v0, vcc_hi, v5
	v_and_b32_e32 v28, exec_lo, v4
	v_lshlrev_b32_e32 v5, 30, v27
	v_mov_b32_e32 v4, v1
	v_cmp_gt_i64_e32 vcc, 0, v[4:5]
	v_not_b32_e32 v4, v5
	v_ashrrev_i32_e32 v4, 31, v4
	v_and_b32_e32 v0, exec_hi, v0
	v_xor_b32_e32 v5, vcc_hi, v4
	v_xor_b32_e32 v4, vcc_lo, v4
	v_and_b32_e32 v0, v0, v5
	v_and_b32_e32 v28, v28, v4
	v_lshlrev_b32_e32 v5, 29, v27
	v_mov_b32_e32 v4, v1
	v_cmp_gt_i64_e32 vcc, 0, v[4:5]
	v_not_b32_e32 v4, v5
	v_ashrrev_i32_e32 v4, 31, v4
	v_xor_b32_e32 v5, vcc_hi, v4
	v_xor_b32_e32 v4, vcc_lo, v4
	v_and_b32_e32 v0, v0, v5
	v_and_b32_e32 v28, v28, v4
	v_lshlrev_b32_e32 v5, 28, v27
	v_mov_b32_e32 v4, v1
	v_cmp_gt_i64_e32 vcc, 0, v[4:5]
	v_not_b32_e32 v4, v5
	v_ashrrev_i32_e32 v4, 31, v4
	;; [unrolled: 9-line block ×5, first 2 shown]
	v_xor_b32_e32 v5, vcc_hi, v4
	v_xor_b32_e32 v4, vcc_lo, v4
	v_and_b32_e32 v0, v0, v5
	v_lshlrev_b32_e32 v5, 24, v27
	v_and_b32_e32 v28, v28, v4
	v_mov_b32_e32 v4, v1
	v_not_b32_e32 v1, v5
	v_cmp_gt_i64_e32 vcc, 0, v[4:5]
	v_ashrrev_i32_e32 v1, 31, v1
	; wave barrier
	s_nop 0
	v_xor_b32_e32 v4, vcc_hi, v1
	v_xor_b32_e32 v5, vcc_lo, v1
	ds_read_b32 v23, v24 offset:16
	v_and_b32_e32 v1, v0, v4
	v_and_b32_e32 v0, v28, v5
	v_mbcnt_lo_u32_b32 v4, v0, 0
	v_mbcnt_hi_u32_b32 v27, v1, v4
	v_cmp_eq_u32_e32 vcc, 0, v27
	v_cmp_ne_u64_e64 s[0:1], 0, v[0:1]
	s_and_b64 s[4:5], s[0:1], vcc
	; wave barrier
	s_and_saveexec_b64 s[0:1], s[4:5]
	s_cbranch_execz .LBB14_227
; %bb.226:
	v_bcnt_u32_b32 v0, v0, 0
	v_bcnt_u32_b32 v0, v1, v0
	s_waitcnt lgkmcnt(0)
	v_add_u32_e32 v0, v23, v0
	ds_write_b32 v24, v0 offset:16
.LBB14_227:
	s_or_b64 exec, exec, s[0:1]
	s_waitcnt vmcnt(13)
	v_xor_b32_e32 v26, -1, v26
	v_lshrrev_b32_sdwa v0, s88, v26 dst_sel:DWORD dst_unused:UNUSED_PAD src0_sel:DWORD src1_sel:WORD_0
	v_and_b32_e32 v32, s9, v0
	v_and_b32_e32 v0, 1, v32
	v_mov_b32_e32 v1, 0
	v_lshl_add_u64 v[4:5], v[0:1], 0, -1
	v_cmp_ne_u32_e32 vcc, 0, v0
	v_mad_u32_u24 v29, v32, 20, v20
	s_nop 0
	v_xor_b32_e32 v4, vcc_lo, v4
	v_xor_b32_e32 v0, vcc_hi, v5
	v_and_b32_e32 v33, exec_lo, v4
	v_lshlrev_b32_e32 v5, 30, v32
	v_mov_b32_e32 v4, v1
	v_cmp_gt_i64_e32 vcc, 0, v[4:5]
	v_not_b32_e32 v4, v5
	v_ashrrev_i32_e32 v4, 31, v4
	v_and_b32_e32 v0, exec_hi, v0
	v_xor_b32_e32 v5, vcc_hi, v4
	v_xor_b32_e32 v4, vcc_lo, v4
	v_and_b32_e32 v0, v0, v5
	v_and_b32_e32 v33, v33, v4
	v_lshlrev_b32_e32 v5, 29, v32
	v_mov_b32_e32 v4, v1
	v_cmp_gt_i64_e32 vcc, 0, v[4:5]
	v_not_b32_e32 v4, v5
	v_ashrrev_i32_e32 v4, 31, v4
	v_xor_b32_e32 v5, vcc_hi, v4
	v_xor_b32_e32 v4, vcc_lo, v4
	v_and_b32_e32 v0, v0, v5
	v_and_b32_e32 v33, v33, v4
	v_lshlrev_b32_e32 v5, 28, v32
	v_mov_b32_e32 v4, v1
	v_cmp_gt_i64_e32 vcc, 0, v[4:5]
	v_not_b32_e32 v4, v5
	v_ashrrev_i32_e32 v4, 31, v4
	;; [unrolled: 9-line block ×6, first 2 shown]
	v_xor_b32_e32 v5, vcc_hi, v4
	v_xor_b32_e32 v4, vcc_lo, v4
	; wave barrier
	ds_read_b32 v28, v29 offset:16
	v_and_b32_e32 v4, v33, v4
	v_and_b32_e32 v5, v0, v5
	v_mbcnt_lo_u32_b32 v0, v4, 0
	v_mbcnt_hi_u32_b32 v32, v5, v0
	v_cmp_eq_u32_e32 vcc, 0, v32
	v_cmp_ne_u64_e64 s[0:1], 0, v[4:5]
	s_and_b64 s[4:5], s[0:1], vcc
	; wave barrier
	s_and_saveexec_b64 s[0:1], s[4:5]
	s_cbranch_execz .LBB14_229
; %bb.228:
	v_bcnt_u32_b32 v0, v4, 0
	v_bcnt_u32_b32 v0, v5, v0
	s_waitcnt lgkmcnt(0)
	v_add_u32_e32 v0, v28, v0
	ds_write_b32 v29, v0 offset:16
.LBB14_229:
	s_or_b64 exec, exec, s[0:1]
	s_waitcnt vmcnt(12)
	v_xor_b32_e32 v31, -1, v31
	v_lshrrev_b32_sdwa v0, s88, v31 dst_sel:DWORD dst_unused:UNUSED_PAD src0_sel:DWORD src1_sel:WORD_0
	v_and_b32_e32 v37, s9, v0
	v_and_b32_e32 v0, 1, v37
	v_lshl_add_u64 v[4:5], v[0:1], 0, -1
	v_cmp_ne_u32_e32 vcc, 0, v0
	v_mad_u32_u24 v34, v37, 20, v20
	s_nop 0
	v_xor_b32_e32 v4, vcc_lo, v4
	v_xor_b32_e32 v0, vcc_hi, v5
	v_and_b32_e32 v38, exec_lo, v4
	v_lshlrev_b32_e32 v5, 30, v37
	v_mov_b32_e32 v4, v1
	v_cmp_gt_i64_e32 vcc, 0, v[4:5]
	v_not_b32_e32 v4, v5
	v_ashrrev_i32_e32 v4, 31, v4
	v_and_b32_e32 v0, exec_hi, v0
	v_xor_b32_e32 v5, vcc_hi, v4
	v_xor_b32_e32 v4, vcc_lo, v4
	v_and_b32_e32 v0, v0, v5
	v_and_b32_e32 v38, v38, v4
	v_lshlrev_b32_e32 v5, 29, v37
	v_mov_b32_e32 v4, v1
	v_cmp_gt_i64_e32 vcc, 0, v[4:5]
	v_not_b32_e32 v4, v5
	v_ashrrev_i32_e32 v4, 31, v4
	v_xor_b32_e32 v5, vcc_hi, v4
	v_xor_b32_e32 v4, vcc_lo, v4
	v_and_b32_e32 v0, v0, v5
	v_and_b32_e32 v38, v38, v4
	v_lshlrev_b32_e32 v5, 28, v37
	v_mov_b32_e32 v4, v1
	v_cmp_gt_i64_e32 vcc, 0, v[4:5]
	v_not_b32_e32 v4, v5
	v_ashrrev_i32_e32 v4, 31, v4
	v_xor_b32_e32 v5, vcc_hi, v4
	v_xor_b32_e32 v4, vcc_lo, v4
	v_and_b32_e32 v0, v0, v5
	v_and_b32_e32 v38, v38, v4
	v_lshlrev_b32_e32 v5, 27, v37
	v_mov_b32_e32 v4, v1
	v_cmp_gt_i64_e32 vcc, 0, v[4:5]
	v_not_b32_e32 v4, v5
	v_ashrrev_i32_e32 v4, 31, v4
	v_xor_b32_e32 v5, vcc_hi, v4
	v_xor_b32_e32 v4, vcc_lo, v4
	v_and_b32_e32 v0, v0, v5
	v_and_b32_e32 v38, v38, v4
	v_lshlrev_b32_e32 v5, 26, v37
	v_mov_b32_e32 v4, v1
	v_cmp_gt_i64_e32 vcc, 0, v[4:5]
	v_not_b32_e32 v4, v5
	v_ashrrev_i32_e32 v4, 31, v4
	v_xor_b32_e32 v5, vcc_hi, v4
	v_xor_b32_e32 v4, vcc_lo, v4
	v_and_b32_e32 v0, v0, v5
	v_and_b32_e32 v38, v38, v4
	v_lshlrev_b32_e32 v5, 25, v37
	v_mov_b32_e32 v4, v1
	v_cmp_gt_i64_e32 vcc, 0, v[4:5]
	v_not_b32_e32 v4, v5
	v_ashrrev_i32_e32 v4, 31, v4
	v_xor_b32_e32 v5, vcc_hi, v4
	v_xor_b32_e32 v4, vcc_lo, v4
	v_and_b32_e32 v0, v0, v5
	v_lshlrev_b32_e32 v5, 24, v37
	v_and_b32_e32 v38, v38, v4
	v_mov_b32_e32 v4, v1
	v_not_b32_e32 v1, v5
	v_cmp_gt_i64_e32 vcc, 0, v[4:5]
	v_ashrrev_i32_e32 v1, 31, v1
	; wave barrier
	s_nop 0
	v_xor_b32_e32 v4, vcc_hi, v1
	v_xor_b32_e32 v5, vcc_lo, v1
	ds_read_b32 v33, v34 offset:16
	v_and_b32_e32 v1, v0, v4
	v_and_b32_e32 v0, v38, v5
	v_mbcnt_lo_u32_b32 v4, v0, 0
	v_mbcnt_hi_u32_b32 v37, v1, v4
	v_cmp_eq_u32_e32 vcc, 0, v37
	v_cmp_ne_u64_e64 s[0:1], 0, v[0:1]
	s_and_b64 s[4:5], s[0:1], vcc
	; wave barrier
	s_and_saveexec_b64 s[0:1], s[4:5]
	s_cbranch_execz .LBB14_231
; %bb.230:
	v_bcnt_u32_b32 v0, v0, 0
	v_bcnt_u32_b32 v0, v1, v0
	s_waitcnt lgkmcnt(0)
	v_add_u32_e32 v0, v33, v0
	ds_write_b32 v34, v0 offset:16
.LBB14_231:
	s_or_b64 exec, exec, s[0:1]
	s_waitcnt vmcnt(11)
	v_xor_b32_e32 v36, -1, v36
	v_lshrrev_b32_sdwa v0, s88, v36 dst_sel:DWORD dst_unused:UNUSED_PAD src0_sel:DWORD src1_sel:WORD_0
	v_and_b32_e32 v42, s9, v0
	v_and_b32_e32 v0, 1, v42
	v_mov_b32_e32 v1, 0
	v_lshl_add_u64 v[4:5], v[0:1], 0, -1
	v_cmp_ne_u32_e32 vcc, 0, v0
	v_mad_u32_u24 v39, v42, 20, v20
	s_nop 0
	v_xor_b32_e32 v4, vcc_lo, v4
	v_xor_b32_e32 v0, vcc_hi, v5
	v_and_b32_e32 v43, exec_lo, v4
	v_lshlrev_b32_e32 v5, 30, v42
	v_mov_b32_e32 v4, v1
	v_cmp_gt_i64_e32 vcc, 0, v[4:5]
	v_not_b32_e32 v4, v5
	v_ashrrev_i32_e32 v4, 31, v4
	v_and_b32_e32 v0, exec_hi, v0
	v_xor_b32_e32 v5, vcc_hi, v4
	v_xor_b32_e32 v4, vcc_lo, v4
	v_and_b32_e32 v0, v0, v5
	v_and_b32_e32 v43, v43, v4
	v_lshlrev_b32_e32 v5, 29, v42
	v_mov_b32_e32 v4, v1
	v_cmp_gt_i64_e32 vcc, 0, v[4:5]
	v_not_b32_e32 v4, v5
	v_ashrrev_i32_e32 v4, 31, v4
	v_xor_b32_e32 v5, vcc_hi, v4
	v_xor_b32_e32 v4, vcc_lo, v4
	v_and_b32_e32 v0, v0, v5
	v_and_b32_e32 v43, v43, v4
	v_lshlrev_b32_e32 v5, 28, v42
	v_mov_b32_e32 v4, v1
	v_cmp_gt_i64_e32 vcc, 0, v[4:5]
	v_not_b32_e32 v4, v5
	v_ashrrev_i32_e32 v4, 31, v4
	;; [unrolled: 9-line block ×6, first 2 shown]
	v_xor_b32_e32 v5, vcc_hi, v4
	v_xor_b32_e32 v4, vcc_lo, v4
	; wave barrier
	ds_read_b32 v38, v39 offset:16
	v_and_b32_e32 v4, v43, v4
	v_and_b32_e32 v5, v0, v5
	v_mbcnt_lo_u32_b32 v0, v4, 0
	v_mbcnt_hi_u32_b32 v42, v5, v0
	v_cmp_eq_u32_e32 vcc, 0, v42
	v_cmp_ne_u64_e64 s[0:1], 0, v[4:5]
	s_and_b64 s[4:5], s[0:1], vcc
	; wave barrier
	s_and_saveexec_b64 s[0:1], s[4:5]
	s_cbranch_execz .LBB14_233
; %bb.232:
	v_bcnt_u32_b32 v0, v4, 0
	v_bcnt_u32_b32 v0, v5, v0
	s_waitcnt lgkmcnt(0)
	v_add_u32_e32 v0, v38, v0
	ds_write_b32 v39, v0 offset:16
.LBB14_233:
	s_or_b64 exec, exec, s[0:1]
	s_waitcnt vmcnt(10)
	v_xor_b32_e32 v41, -1, v41
	v_lshrrev_b32_sdwa v0, s88, v41 dst_sel:DWORD dst_unused:UNUSED_PAD src0_sel:DWORD src1_sel:WORD_0
	v_and_b32_e32 v47, s9, v0
	v_and_b32_e32 v0, 1, v47
	v_lshl_add_u64 v[4:5], v[0:1], 0, -1
	v_cmp_ne_u32_e32 vcc, 0, v0
	v_mad_u32_u24 v45, v47, 20, v20
	s_nop 0
	v_xor_b32_e32 v4, vcc_lo, v4
	v_xor_b32_e32 v0, vcc_hi, v5
	v_and_b32_e32 v48, exec_lo, v4
	v_lshlrev_b32_e32 v5, 30, v47
	v_mov_b32_e32 v4, v1
	v_cmp_gt_i64_e32 vcc, 0, v[4:5]
	v_not_b32_e32 v4, v5
	v_ashrrev_i32_e32 v4, 31, v4
	v_and_b32_e32 v0, exec_hi, v0
	v_xor_b32_e32 v5, vcc_hi, v4
	v_xor_b32_e32 v4, vcc_lo, v4
	v_and_b32_e32 v0, v0, v5
	v_and_b32_e32 v48, v48, v4
	v_lshlrev_b32_e32 v5, 29, v47
	v_mov_b32_e32 v4, v1
	v_cmp_gt_i64_e32 vcc, 0, v[4:5]
	v_not_b32_e32 v4, v5
	v_ashrrev_i32_e32 v4, 31, v4
	v_xor_b32_e32 v5, vcc_hi, v4
	v_xor_b32_e32 v4, vcc_lo, v4
	v_and_b32_e32 v0, v0, v5
	v_and_b32_e32 v48, v48, v4
	v_lshlrev_b32_e32 v5, 28, v47
	v_mov_b32_e32 v4, v1
	v_cmp_gt_i64_e32 vcc, 0, v[4:5]
	v_not_b32_e32 v4, v5
	v_ashrrev_i32_e32 v4, 31, v4
	;; [unrolled: 9-line block ×5, first 2 shown]
	v_xor_b32_e32 v5, vcc_hi, v4
	v_xor_b32_e32 v4, vcc_lo, v4
	v_and_b32_e32 v0, v0, v5
	v_lshlrev_b32_e32 v5, 24, v47
	v_and_b32_e32 v48, v48, v4
	v_mov_b32_e32 v4, v1
	v_not_b32_e32 v1, v5
	v_cmp_gt_i64_e32 vcc, 0, v[4:5]
	v_ashrrev_i32_e32 v1, 31, v1
	; wave barrier
	s_nop 0
	v_xor_b32_e32 v4, vcc_hi, v1
	v_xor_b32_e32 v5, vcc_lo, v1
	ds_read_b32 v43, v45 offset:16
	v_and_b32_e32 v1, v0, v4
	v_and_b32_e32 v0, v48, v5
	v_mbcnt_lo_u32_b32 v4, v0, 0
	v_mbcnt_hi_u32_b32 v47, v1, v4
	v_cmp_eq_u32_e32 vcc, 0, v47
	v_cmp_ne_u64_e64 s[0:1], 0, v[0:1]
	s_and_b64 s[4:5], s[0:1], vcc
	; wave barrier
	s_and_saveexec_b64 s[0:1], s[4:5]
	s_cbranch_execz .LBB14_235
; %bb.234:
	v_bcnt_u32_b32 v0, v0, 0
	v_bcnt_u32_b32 v0, v1, v0
	s_waitcnt lgkmcnt(0)
	v_add_u32_e32 v0, v43, v0
	ds_write_b32 v45, v0 offset:16
.LBB14_235:
	s_or_b64 exec, exec, s[0:1]
	s_waitcnt vmcnt(9)
	v_xor_b32_e32 v46, -1, v46
	v_lshrrev_b32_sdwa v0, s88, v46 dst_sel:DWORD dst_unused:UNUSED_PAD src0_sel:DWORD src1_sel:WORD_0
	v_and_b32_e32 v52, s9, v0
	v_and_b32_e32 v0, 1, v52
	v_mov_b32_e32 v1, 0
	v_lshl_add_u64 v[4:5], v[0:1], 0, -1
	v_cmp_ne_u32_e32 vcc, 0, v0
	v_mad_u32_u24 v50, v52, 20, v20
	s_nop 0
	v_xor_b32_e32 v4, vcc_lo, v4
	v_xor_b32_e32 v0, vcc_hi, v5
	v_and_b32_e32 v53, exec_lo, v4
	v_lshlrev_b32_e32 v5, 30, v52
	v_mov_b32_e32 v4, v1
	v_cmp_gt_i64_e32 vcc, 0, v[4:5]
	v_not_b32_e32 v4, v5
	v_ashrrev_i32_e32 v4, 31, v4
	v_and_b32_e32 v0, exec_hi, v0
	v_xor_b32_e32 v5, vcc_hi, v4
	v_xor_b32_e32 v4, vcc_lo, v4
	v_and_b32_e32 v0, v0, v5
	v_and_b32_e32 v53, v53, v4
	v_lshlrev_b32_e32 v5, 29, v52
	v_mov_b32_e32 v4, v1
	v_cmp_gt_i64_e32 vcc, 0, v[4:5]
	v_not_b32_e32 v4, v5
	v_ashrrev_i32_e32 v4, 31, v4
	v_xor_b32_e32 v5, vcc_hi, v4
	v_xor_b32_e32 v4, vcc_lo, v4
	v_and_b32_e32 v0, v0, v5
	v_and_b32_e32 v53, v53, v4
	v_lshlrev_b32_e32 v5, 28, v52
	v_mov_b32_e32 v4, v1
	v_cmp_gt_i64_e32 vcc, 0, v[4:5]
	v_not_b32_e32 v4, v5
	v_ashrrev_i32_e32 v4, 31, v4
	v_xor_b32_e32 v5, vcc_hi, v4
	v_xor_b32_e32 v4, vcc_lo, v4
	v_and_b32_e32 v0, v0, v5
	v_and_b32_e32 v53, v53, v4
	v_lshlrev_b32_e32 v5, 27, v52
	v_mov_b32_e32 v4, v1
	v_cmp_gt_i64_e32 vcc, 0, v[4:5]
	v_not_b32_e32 v4, v5
	v_ashrrev_i32_e32 v4, 31, v4
	v_xor_b32_e32 v5, vcc_hi, v4
	v_xor_b32_e32 v4, vcc_lo, v4
	v_and_b32_e32 v0, v0, v5
	v_and_b32_e32 v53, v53, v4
	v_lshlrev_b32_e32 v5, 26, v52
	v_mov_b32_e32 v4, v1
	v_cmp_gt_i64_e32 vcc, 0, v[4:5]
	v_not_b32_e32 v4, v5
	v_ashrrev_i32_e32 v4, 31, v4
	v_xor_b32_e32 v5, vcc_hi, v4
	v_xor_b32_e32 v4, vcc_lo, v4
	v_and_b32_e32 v0, v0, v5
	v_and_b32_e32 v53, v53, v4
	v_lshlrev_b32_e32 v5, 25, v52
	v_mov_b32_e32 v4, v1
	v_cmp_gt_i64_e32 vcc, 0, v[4:5]
	v_not_b32_e32 v4, v5
	v_ashrrev_i32_e32 v4, 31, v4
	v_xor_b32_e32 v5, vcc_hi, v4
	v_xor_b32_e32 v4, vcc_lo, v4
	v_and_b32_e32 v0, v0, v5
	v_and_b32_e32 v53, v53, v4
	v_lshlrev_b32_e32 v5, 24, v52
	v_mov_b32_e32 v4, v1
	v_cmp_gt_i64_e32 vcc, 0, v[4:5]
	v_not_b32_e32 v4, v5
	v_ashrrev_i32_e32 v4, 31, v4
	v_xor_b32_e32 v5, vcc_hi, v4
	v_xor_b32_e32 v4, vcc_lo, v4
	; wave barrier
	ds_read_b32 v48, v50 offset:16
	v_and_b32_e32 v4, v53, v4
	v_and_b32_e32 v5, v0, v5
	v_mbcnt_lo_u32_b32 v0, v4, 0
	v_mbcnt_hi_u32_b32 v52, v5, v0
	v_cmp_eq_u32_e32 vcc, 0, v52
	v_cmp_ne_u64_e64 s[0:1], 0, v[4:5]
	s_and_b64 s[4:5], s[0:1], vcc
	; wave barrier
	s_and_saveexec_b64 s[0:1], s[4:5]
	s_cbranch_execz .LBB14_237
; %bb.236:
	v_bcnt_u32_b32 v0, v4, 0
	v_bcnt_u32_b32 v0, v5, v0
	s_waitcnt lgkmcnt(0)
	v_add_u32_e32 v0, v48, v0
	ds_write_b32 v50, v0 offset:16
.LBB14_237:
	s_or_b64 exec, exec, s[0:1]
	s_waitcnt vmcnt(8)
	v_xor_b32_e32 v51, -1, v51
	v_lshrrev_b32_sdwa v0, s88, v51 dst_sel:DWORD dst_unused:UNUSED_PAD src0_sel:DWORD src1_sel:WORD_0
	v_and_b32_e32 v56, s9, v0
	v_and_b32_e32 v0, 1, v56
	v_lshl_add_u64 v[4:5], v[0:1], 0, -1
	v_cmp_ne_u32_e32 vcc, 0, v0
	v_mad_u32_u24 v55, v56, 20, v20
	s_nop 0
	v_xor_b32_e32 v4, vcc_lo, v4
	v_xor_b32_e32 v0, vcc_hi, v5
	v_and_b32_e32 v57, exec_lo, v4
	v_lshlrev_b32_e32 v5, 30, v56
	v_mov_b32_e32 v4, v1
	v_cmp_gt_i64_e32 vcc, 0, v[4:5]
	v_not_b32_e32 v4, v5
	v_ashrrev_i32_e32 v4, 31, v4
	v_and_b32_e32 v0, exec_hi, v0
	v_xor_b32_e32 v5, vcc_hi, v4
	v_xor_b32_e32 v4, vcc_lo, v4
	v_and_b32_e32 v0, v0, v5
	v_and_b32_e32 v57, v57, v4
	v_lshlrev_b32_e32 v5, 29, v56
	v_mov_b32_e32 v4, v1
	v_cmp_gt_i64_e32 vcc, 0, v[4:5]
	v_not_b32_e32 v4, v5
	v_ashrrev_i32_e32 v4, 31, v4
	v_xor_b32_e32 v5, vcc_hi, v4
	v_xor_b32_e32 v4, vcc_lo, v4
	v_and_b32_e32 v0, v0, v5
	v_and_b32_e32 v57, v57, v4
	v_lshlrev_b32_e32 v5, 28, v56
	v_mov_b32_e32 v4, v1
	v_cmp_gt_i64_e32 vcc, 0, v[4:5]
	v_not_b32_e32 v4, v5
	v_ashrrev_i32_e32 v4, 31, v4
	;; [unrolled: 9-line block ×5, first 2 shown]
	v_xor_b32_e32 v5, vcc_hi, v4
	v_xor_b32_e32 v4, vcc_lo, v4
	v_and_b32_e32 v0, v0, v5
	v_lshlrev_b32_e32 v5, 24, v56
	v_and_b32_e32 v57, v57, v4
	v_mov_b32_e32 v4, v1
	v_not_b32_e32 v1, v5
	v_cmp_gt_i64_e32 vcc, 0, v[4:5]
	v_ashrrev_i32_e32 v1, 31, v1
	; wave barrier
	s_nop 0
	v_xor_b32_e32 v4, vcc_hi, v1
	v_xor_b32_e32 v5, vcc_lo, v1
	ds_read_b32 v53, v55 offset:16
	v_and_b32_e32 v1, v0, v4
	v_and_b32_e32 v0, v57, v5
	v_mbcnt_lo_u32_b32 v4, v0, 0
	v_mbcnt_hi_u32_b32 v56, v1, v4
	v_cmp_eq_u32_e32 vcc, 0, v56
	v_cmp_ne_u64_e64 s[0:1], 0, v[0:1]
	s_and_b64 s[4:5], s[0:1], vcc
	; wave barrier
	s_and_saveexec_b64 s[0:1], s[4:5]
	s_cbranch_execz .LBB14_239
; %bb.238:
	v_bcnt_u32_b32 v0, v0, 0
	v_bcnt_u32_b32 v0, v1, v0
	s_waitcnt lgkmcnt(0)
	v_add_u32_e32 v0, v53, v0
	ds_write_b32 v55, v0 offset:16
.LBB14_239:
	s_or_b64 exec, exec, s[0:1]
	s_waitcnt vmcnt(7)
	v_xor_b32_e32 v54, -1, v54
	v_lshrrev_b32_sdwa v0, s88, v54 dst_sel:DWORD dst_unused:UNUSED_PAD src0_sel:DWORD src1_sel:WORD_0
	v_and_b32_e32 v59, s9, v0
	v_and_b32_e32 v0, 1, v59
	v_mov_b32_e32 v1, 0
	v_lshl_add_u64 v[4:5], v[0:1], 0, -1
	v_cmp_ne_u32_e32 vcc, 0, v0
	v_mad_u32_u24 v58, v59, 20, v20
	s_nop 0
	v_xor_b32_e32 v4, vcc_lo, v4
	v_xor_b32_e32 v0, vcc_hi, v5
	v_and_b32_e32 v60, exec_lo, v4
	v_lshlrev_b32_e32 v5, 30, v59
	v_mov_b32_e32 v4, v1
	v_cmp_gt_i64_e32 vcc, 0, v[4:5]
	v_not_b32_e32 v4, v5
	v_ashrrev_i32_e32 v4, 31, v4
	v_and_b32_e32 v0, exec_hi, v0
	v_xor_b32_e32 v5, vcc_hi, v4
	v_xor_b32_e32 v4, vcc_lo, v4
	v_and_b32_e32 v0, v0, v5
	v_and_b32_e32 v60, v60, v4
	v_lshlrev_b32_e32 v5, 29, v59
	v_mov_b32_e32 v4, v1
	v_cmp_gt_i64_e32 vcc, 0, v[4:5]
	v_not_b32_e32 v4, v5
	v_ashrrev_i32_e32 v4, 31, v4
	v_xor_b32_e32 v5, vcc_hi, v4
	v_xor_b32_e32 v4, vcc_lo, v4
	v_and_b32_e32 v0, v0, v5
	v_and_b32_e32 v60, v60, v4
	v_lshlrev_b32_e32 v5, 28, v59
	v_mov_b32_e32 v4, v1
	v_cmp_gt_i64_e32 vcc, 0, v[4:5]
	v_not_b32_e32 v4, v5
	v_ashrrev_i32_e32 v4, 31, v4
	;; [unrolled: 9-line block ×6, first 2 shown]
	v_xor_b32_e32 v5, vcc_hi, v4
	v_xor_b32_e32 v4, vcc_lo, v4
	; wave barrier
	ds_read_b32 v57, v58 offset:16
	v_and_b32_e32 v4, v60, v4
	v_and_b32_e32 v5, v0, v5
	v_mbcnt_lo_u32_b32 v0, v4, 0
	v_mbcnt_hi_u32_b32 v59, v5, v0
	v_cmp_eq_u32_e32 vcc, 0, v59
	v_cmp_ne_u64_e64 s[0:1], 0, v[4:5]
	s_and_b64 s[4:5], s[0:1], vcc
	; wave barrier
	s_and_saveexec_b64 s[0:1], s[4:5]
	s_cbranch_execz .LBB14_241
; %bb.240:
	v_bcnt_u32_b32 v0, v4, 0
	v_bcnt_u32_b32 v0, v5, v0
	s_waitcnt lgkmcnt(0)
	v_add_u32_e32 v0, v57, v0
	ds_write_b32 v58, v0 offset:16
.LBB14_241:
	s_or_b64 exec, exec, s[0:1]
	s_waitcnt vmcnt(6)
	v_xor_b32_e32 v49, -1, v49
	v_lshrrev_b32_sdwa v0, s88, v49 dst_sel:DWORD dst_unused:UNUSED_PAD src0_sel:DWORD src1_sel:WORD_0
	v_and_b32_e32 v62, s9, v0
	v_and_b32_e32 v0, 1, v62
	v_lshl_add_u64 v[4:5], v[0:1], 0, -1
	v_cmp_ne_u32_e32 vcc, 0, v0
	v_mad_u32_u24 v61, v62, 20, v20
	s_nop 0
	v_xor_b32_e32 v4, vcc_lo, v4
	v_xor_b32_e32 v0, vcc_hi, v5
	v_and_b32_e32 v63, exec_lo, v4
	v_lshlrev_b32_e32 v5, 30, v62
	v_mov_b32_e32 v4, v1
	v_cmp_gt_i64_e32 vcc, 0, v[4:5]
	v_not_b32_e32 v4, v5
	v_ashrrev_i32_e32 v4, 31, v4
	v_and_b32_e32 v0, exec_hi, v0
	v_xor_b32_e32 v5, vcc_hi, v4
	v_xor_b32_e32 v4, vcc_lo, v4
	v_and_b32_e32 v0, v0, v5
	v_and_b32_e32 v63, v63, v4
	v_lshlrev_b32_e32 v5, 29, v62
	v_mov_b32_e32 v4, v1
	v_cmp_gt_i64_e32 vcc, 0, v[4:5]
	v_not_b32_e32 v4, v5
	v_ashrrev_i32_e32 v4, 31, v4
	v_xor_b32_e32 v5, vcc_hi, v4
	v_xor_b32_e32 v4, vcc_lo, v4
	v_and_b32_e32 v0, v0, v5
	v_and_b32_e32 v63, v63, v4
	v_lshlrev_b32_e32 v5, 28, v62
	v_mov_b32_e32 v4, v1
	v_cmp_gt_i64_e32 vcc, 0, v[4:5]
	v_not_b32_e32 v4, v5
	v_ashrrev_i32_e32 v4, 31, v4
	;; [unrolled: 9-line block ×5, first 2 shown]
	v_xor_b32_e32 v5, vcc_hi, v4
	v_xor_b32_e32 v4, vcc_lo, v4
	v_and_b32_e32 v0, v0, v5
	v_lshlrev_b32_e32 v5, 24, v62
	v_and_b32_e32 v63, v63, v4
	v_mov_b32_e32 v4, v1
	v_not_b32_e32 v1, v5
	v_cmp_gt_i64_e32 vcc, 0, v[4:5]
	v_ashrrev_i32_e32 v1, 31, v1
	; wave barrier
	s_nop 0
	v_xor_b32_e32 v4, vcc_hi, v1
	v_xor_b32_e32 v5, vcc_lo, v1
	ds_read_b32 v60, v61 offset:16
	v_and_b32_e32 v1, v0, v4
	v_and_b32_e32 v0, v63, v5
	v_mbcnt_lo_u32_b32 v4, v0, 0
	v_mbcnt_hi_u32_b32 v62, v1, v4
	v_cmp_eq_u32_e32 vcc, 0, v62
	v_cmp_ne_u64_e64 s[0:1], 0, v[0:1]
	s_and_b64 s[4:5], s[0:1], vcc
	; wave barrier
	s_and_saveexec_b64 s[0:1], s[4:5]
	s_cbranch_execz .LBB14_243
; %bb.242:
	v_bcnt_u32_b32 v0, v0, 0
	v_bcnt_u32_b32 v0, v1, v0
	s_waitcnt lgkmcnt(0)
	v_add_u32_e32 v0, v60, v0
	ds_write_b32 v61, v0 offset:16
.LBB14_243:
	s_or_b64 exec, exec, s[0:1]
	s_waitcnt vmcnt(5)
	v_xor_b32_e32 v44, -1, v44
	v_lshrrev_b32_sdwa v0, s88, v44 dst_sel:DWORD dst_unused:UNUSED_PAD src0_sel:DWORD src1_sel:WORD_0
	v_and_b32_e32 v65, s9, v0
	v_and_b32_e32 v0, 1, v65
	v_mov_b32_e32 v1, 0
	v_lshl_add_u64 v[4:5], v[0:1], 0, -1
	v_cmp_ne_u32_e32 vcc, 0, v0
	v_mad_u32_u24 v64, v65, 20, v20
	s_nop 0
	v_xor_b32_e32 v4, vcc_lo, v4
	v_xor_b32_e32 v0, vcc_hi, v5
	v_and_b32_e32 v66, exec_lo, v4
	v_lshlrev_b32_e32 v5, 30, v65
	v_mov_b32_e32 v4, v1
	v_cmp_gt_i64_e32 vcc, 0, v[4:5]
	v_not_b32_e32 v4, v5
	v_ashrrev_i32_e32 v4, 31, v4
	v_and_b32_e32 v0, exec_hi, v0
	v_xor_b32_e32 v5, vcc_hi, v4
	v_xor_b32_e32 v4, vcc_lo, v4
	v_and_b32_e32 v0, v0, v5
	v_and_b32_e32 v66, v66, v4
	v_lshlrev_b32_e32 v5, 29, v65
	v_mov_b32_e32 v4, v1
	v_cmp_gt_i64_e32 vcc, 0, v[4:5]
	v_not_b32_e32 v4, v5
	v_ashrrev_i32_e32 v4, 31, v4
	v_xor_b32_e32 v5, vcc_hi, v4
	v_xor_b32_e32 v4, vcc_lo, v4
	v_and_b32_e32 v0, v0, v5
	v_and_b32_e32 v66, v66, v4
	v_lshlrev_b32_e32 v5, 28, v65
	v_mov_b32_e32 v4, v1
	v_cmp_gt_i64_e32 vcc, 0, v[4:5]
	v_not_b32_e32 v4, v5
	v_ashrrev_i32_e32 v4, 31, v4
	;; [unrolled: 9-line block ×6, first 2 shown]
	v_xor_b32_e32 v5, vcc_hi, v4
	v_xor_b32_e32 v4, vcc_lo, v4
	; wave barrier
	ds_read_b32 v63, v64 offset:16
	v_and_b32_e32 v4, v66, v4
	v_and_b32_e32 v5, v0, v5
	v_mbcnt_lo_u32_b32 v0, v4, 0
	v_mbcnt_hi_u32_b32 v65, v5, v0
	v_cmp_eq_u32_e32 vcc, 0, v65
	v_cmp_ne_u64_e64 s[0:1], 0, v[4:5]
	s_and_b64 s[4:5], s[0:1], vcc
	; wave barrier
	s_and_saveexec_b64 s[0:1], s[4:5]
	s_cbranch_execz .LBB14_245
; %bb.244:
	v_bcnt_u32_b32 v0, v4, 0
	v_bcnt_u32_b32 v0, v5, v0
	s_waitcnt lgkmcnt(0)
	v_add_u32_e32 v0, v63, v0
	ds_write_b32 v64, v0 offset:16
.LBB14_245:
	s_or_b64 exec, exec, s[0:1]
	s_waitcnt vmcnt(4)
	v_xor_b32_e32 v40, -1, v40
	v_lshrrev_b32_sdwa v0, s88, v40 dst_sel:DWORD dst_unused:UNUSED_PAD src0_sel:DWORD src1_sel:WORD_0
	v_and_b32_e32 v68, s9, v0
	v_and_b32_e32 v0, 1, v68
	v_lshl_add_u64 v[4:5], v[0:1], 0, -1
	v_cmp_ne_u32_e32 vcc, 0, v0
	v_mad_u32_u24 v67, v68, 20, v20
	s_nop 0
	v_xor_b32_e32 v4, vcc_lo, v4
	v_xor_b32_e32 v0, vcc_hi, v5
	v_and_b32_e32 v69, exec_lo, v4
	v_lshlrev_b32_e32 v5, 30, v68
	v_mov_b32_e32 v4, v1
	v_cmp_gt_i64_e32 vcc, 0, v[4:5]
	v_not_b32_e32 v4, v5
	v_ashrrev_i32_e32 v4, 31, v4
	v_and_b32_e32 v0, exec_hi, v0
	v_xor_b32_e32 v5, vcc_hi, v4
	v_xor_b32_e32 v4, vcc_lo, v4
	v_and_b32_e32 v0, v0, v5
	v_and_b32_e32 v69, v69, v4
	v_lshlrev_b32_e32 v5, 29, v68
	v_mov_b32_e32 v4, v1
	v_cmp_gt_i64_e32 vcc, 0, v[4:5]
	v_not_b32_e32 v4, v5
	v_ashrrev_i32_e32 v4, 31, v4
	v_xor_b32_e32 v5, vcc_hi, v4
	v_xor_b32_e32 v4, vcc_lo, v4
	v_and_b32_e32 v0, v0, v5
	v_and_b32_e32 v69, v69, v4
	v_lshlrev_b32_e32 v5, 28, v68
	v_mov_b32_e32 v4, v1
	v_cmp_gt_i64_e32 vcc, 0, v[4:5]
	v_not_b32_e32 v4, v5
	v_ashrrev_i32_e32 v4, 31, v4
	;; [unrolled: 9-line block ×5, first 2 shown]
	v_xor_b32_e32 v5, vcc_hi, v4
	v_xor_b32_e32 v4, vcc_lo, v4
	v_and_b32_e32 v0, v0, v5
	v_lshlrev_b32_e32 v5, 24, v68
	v_and_b32_e32 v69, v69, v4
	v_mov_b32_e32 v4, v1
	v_not_b32_e32 v1, v5
	v_cmp_gt_i64_e32 vcc, 0, v[4:5]
	v_ashrrev_i32_e32 v1, 31, v1
	; wave barrier
	s_nop 0
	v_xor_b32_e32 v4, vcc_hi, v1
	v_xor_b32_e32 v5, vcc_lo, v1
	ds_read_b32 v66, v67 offset:16
	v_and_b32_e32 v1, v0, v4
	v_and_b32_e32 v0, v69, v5
	v_mbcnt_lo_u32_b32 v4, v0, 0
	v_mbcnt_hi_u32_b32 v68, v1, v4
	v_cmp_eq_u32_e32 vcc, 0, v68
	v_cmp_ne_u64_e64 s[0:1], 0, v[0:1]
	s_and_b64 s[4:5], s[0:1], vcc
	; wave barrier
	s_and_saveexec_b64 s[0:1], s[4:5]
	s_cbranch_execz .LBB14_247
; %bb.246:
	v_bcnt_u32_b32 v0, v0, 0
	v_bcnt_u32_b32 v0, v1, v0
	s_waitcnt lgkmcnt(0)
	v_add_u32_e32 v0, v66, v0
	ds_write_b32 v67, v0 offset:16
.LBB14_247:
	s_or_b64 exec, exec, s[0:1]
	s_waitcnt vmcnt(3)
	v_xor_b32_e32 v35, -1, v35
	v_lshrrev_b32_sdwa v0, s88, v35 dst_sel:DWORD dst_unused:UNUSED_PAD src0_sel:DWORD src1_sel:WORD_0
	v_and_b32_e32 v71, s9, v0
	v_and_b32_e32 v0, 1, v71
	v_mov_b32_e32 v1, 0
	v_lshl_add_u64 v[4:5], v[0:1], 0, -1
	v_cmp_ne_u32_e32 vcc, 0, v0
	v_mad_u32_u24 v70, v71, 20, v20
	s_nop 0
	v_xor_b32_e32 v4, vcc_lo, v4
	v_xor_b32_e32 v0, vcc_hi, v5
	v_and_b32_e32 v72, exec_lo, v4
	v_lshlrev_b32_e32 v5, 30, v71
	v_mov_b32_e32 v4, v1
	v_cmp_gt_i64_e32 vcc, 0, v[4:5]
	v_not_b32_e32 v4, v5
	v_ashrrev_i32_e32 v4, 31, v4
	v_and_b32_e32 v0, exec_hi, v0
	v_xor_b32_e32 v5, vcc_hi, v4
	v_xor_b32_e32 v4, vcc_lo, v4
	v_and_b32_e32 v0, v0, v5
	v_and_b32_e32 v72, v72, v4
	v_lshlrev_b32_e32 v5, 29, v71
	v_mov_b32_e32 v4, v1
	v_cmp_gt_i64_e32 vcc, 0, v[4:5]
	v_not_b32_e32 v4, v5
	v_ashrrev_i32_e32 v4, 31, v4
	v_xor_b32_e32 v5, vcc_hi, v4
	v_xor_b32_e32 v4, vcc_lo, v4
	v_and_b32_e32 v0, v0, v5
	v_and_b32_e32 v72, v72, v4
	v_lshlrev_b32_e32 v5, 28, v71
	v_mov_b32_e32 v4, v1
	v_cmp_gt_i64_e32 vcc, 0, v[4:5]
	v_not_b32_e32 v4, v5
	v_ashrrev_i32_e32 v4, 31, v4
	;; [unrolled: 9-line block ×6, first 2 shown]
	v_xor_b32_e32 v5, vcc_hi, v4
	v_xor_b32_e32 v4, vcc_lo, v4
	; wave barrier
	ds_read_b32 v69, v70 offset:16
	v_and_b32_e32 v4, v72, v4
	v_and_b32_e32 v5, v0, v5
	v_mbcnt_lo_u32_b32 v0, v4, 0
	v_mbcnt_hi_u32_b32 v72, v5, v0
	v_cmp_eq_u32_e32 vcc, 0, v72
	v_cmp_ne_u64_e64 s[0:1], 0, v[4:5]
	s_and_b64 s[4:5], s[0:1], vcc
	; wave barrier
	s_and_saveexec_b64 s[0:1], s[4:5]
	s_cbranch_execz .LBB14_249
; %bb.248:
	v_bcnt_u32_b32 v0, v4, 0
	v_bcnt_u32_b32 v0, v5, v0
	s_waitcnt lgkmcnt(0)
	v_add_u32_e32 v0, v69, v0
	ds_write_b32 v70, v0 offset:16
.LBB14_249:
	s_or_b64 exec, exec, s[0:1]
	s_waitcnt vmcnt(2)
	v_xor_b32_e32 v71, -1, v30
	v_lshrrev_b32_sdwa v0, s88, v71 dst_sel:DWORD dst_unused:UNUSED_PAD src0_sel:DWORD src1_sel:WORD_0
	v_and_b32_e32 v74, s9, v0
	v_and_b32_e32 v0, 1, v74
	v_lshl_add_u64 v[4:5], v[0:1], 0, -1
	v_cmp_ne_u32_e32 vcc, 0, v0
	v_mad_u32_u24 v30, v74, 20, v20
	s_nop 0
	v_xor_b32_e32 v4, vcc_lo, v4
	v_xor_b32_e32 v0, vcc_hi, v5
	v_and_b32_e32 v75, exec_lo, v4
	v_lshlrev_b32_e32 v5, 30, v74
	v_mov_b32_e32 v4, v1
	v_cmp_gt_i64_e32 vcc, 0, v[4:5]
	v_not_b32_e32 v4, v5
	v_ashrrev_i32_e32 v4, 31, v4
	v_and_b32_e32 v0, exec_hi, v0
	v_xor_b32_e32 v5, vcc_hi, v4
	v_xor_b32_e32 v4, vcc_lo, v4
	v_and_b32_e32 v0, v0, v5
	v_and_b32_e32 v75, v75, v4
	v_lshlrev_b32_e32 v5, 29, v74
	v_mov_b32_e32 v4, v1
	v_cmp_gt_i64_e32 vcc, 0, v[4:5]
	v_not_b32_e32 v4, v5
	v_ashrrev_i32_e32 v4, 31, v4
	v_xor_b32_e32 v5, vcc_hi, v4
	v_xor_b32_e32 v4, vcc_lo, v4
	v_and_b32_e32 v0, v0, v5
	v_and_b32_e32 v75, v75, v4
	v_lshlrev_b32_e32 v5, 28, v74
	v_mov_b32_e32 v4, v1
	v_cmp_gt_i64_e32 vcc, 0, v[4:5]
	v_not_b32_e32 v4, v5
	v_ashrrev_i32_e32 v4, 31, v4
	;; [unrolled: 9-line block ×5, first 2 shown]
	v_xor_b32_e32 v5, vcc_hi, v4
	v_xor_b32_e32 v4, vcc_lo, v4
	v_and_b32_e32 v0, v0, v5
	v_lshlrev_b32_e32 v5, 24, v74
	v_and_b32_e32 v75, v75, v4
	v_mov_b32_e32 v4, v1
	v_not_b32_e32 v1, v5
	v_cmp_gt_i64_e32 vcc, 0, v[4:5]
	v_ashrrev_i32_e32 v1, 31, v1
	; wave barrier
	s_nop 0
	v_xor_b32_e32 v4, vcc_hi, v1
	v_xor_b32_e32 v5, vcc_lo, v1
	ds_read_b32 v73, v30 offset:16
	v_and_b32_e32 v1, v0, v4
	v_and_b32_e32 v0, v75, v5
	v_mbcnt_lo_u32_b32 v4, v0, 0
	v_mbcnt_hi_u32_b32 v75, v1, v4
	v_cmp_eq_u32_e32 vcc, 0, v75
	v_cmp_ne_u64_e64 s[0:1], 0, v[0:1]
	s_and_b64 s[4:5], s[0:1], vcc
	; wave barrier
	s_and_saveexec_b64 s[0:1], s[4:5]
	s_cbranch_execz .LBB14_251
; %bb.250:
	v_bcnt_u32_b32 v0, v0, 0
	v_bcnt_u32_b32 v0, v1, v0
	s_waitcnt lgkmcnt(0)
	v_add_u32_e32 v0, v73, v0
	ds_write_b32 v30, v0 offset:16
.LBB14_251:
	s_or_b64 exec, exec, s[0:1]
	s_waitcnt vmcnt(1)
	v_xor_b32_e32 v74, -1, v25
	v_lshrrev_b32_sdwa v0, s88, v74 dst_sel:DWORD dst_unused:UNUSED_PAD src0_sel:DWORD src1_sel:WORD_0
	v_and_b32_e32 v77, s9, v0
	v_and_b32_e32 v0, 1, v77
	v_mov_b32_e32 v1, 0
	v_lshl_add_u64 v[4:5], v[0:1], 0, -1
	v_cmp_ne_u32_e32 vcc, 0, v0
	v_mad_u32_u24 v25, v77, 20, v20
	s_nop 0
	v_xor_b32_e32 v4, vcc_lo, v4
	v_xor_b32_e32 v0, vcc_hi, v5
	v_and_b32_e32 v78, exec_lo, v4
	v_lshlrev_b32_e32 v5, 30, v77
	v_mov_b32_e32 v4, v1
	v_cmp_gt_i64_e32 vcc, 0, v[4:5]
	v_not_b32_e32 v4, v5
	v_ashrrev_i32_e32 v4, 31, v4
	v_and_b32_e32 v0, exec_hi, v0
	v_xor_b32_e32 v5, vcc_hi, v4
	v_xor_b32_e32 v4, vcc_lo, v4
	v_and_b32_e32 v0, v0, v5
	v_and_b32_e32 v78, v78, v4
	v_lshlrev_b32_e32 v5, 29, v77
	v_mov_b32_e32 v4, v1
	v_cmp_gt_i64_e32 vcc, 0, v[4:5]
	v_not_b32_e32 v4, v5
	v_ashrrev_i32_e32 v4, 31, v4
	v_xor_b32_e32 v5, vcc_hi, v4
	v_xor_b32_e32 v4, vcc_lo, v4
	v_and_b32_e32 v0, v0, v5
	v_and_b32_e32 v78, v78, v4
	v_lshlrev_b32_e32 v5, 28, v77
	v_mov_b32_e32 v4, v1
	v_cmp_gt_i64_e32 vcc, 0, v[4:5]
	v_not_b32_e32 v4, v5
	v_ashrrev_i32_e32 v4, 31, v4
	;; [unrolled: 9-line block ×6, first 2 shown]
	v_xor_b32_e32 v5, vcc_hi, v4
	v_xor_b32_e32 v4, vcc_lo, v4
	; wave barrier
	ds_read_b32 v76, v25 offset:16
	v_and_b32_e32 v4, v78, v4
	v_and_b32_e32 v5, v0, v5
	v_mbcnt_lo_u32_b32 v0, v4, 0
	v_mbcnt_hi_u32_b32 v78, v5, v0
	v_cmp_eq_u32_e32 vcc, 0, v78
	v_cmp_ne_u64_e64 s[0:1], 0, v[4:5]
	s_and_b64 s[4:5], s[0:1], vcc
	; wave barrier
	s_and_saveexec_b64 s[0:1], s[4:5]
	s_cbranch_execz .LBB14_253
; %bb.252:
	v_bcnt_u32_b32 v0, v4, 0
	v_bcnt_u32_b32 v0, v5, v0
	s_waitcnt lgkmcnt(0)
	v_add_u32_e32 v0, v76, v0
	ds_write_b32 v25, v0 offset:16
.LBB14_253:
	s_or_b64 exec, exec, s[0:1]
	s_waitcnt vmcnt(0)
	v_xor_b32_e32 v77, -1, v19
	v_lshrrev_b32_sdwa v0, s88, v77 dst_sel:DWORD dst_unused:UNUSED_PAD src0_sel:DWORD src1_sel:WORD_0
	v_and_b32_e32 v80, s9, v0
	v_and_b32_e32 v0, 1, v80
	v_lshl_add_u64 v[4:5], v[0:1], 0, -1
	v_cmp_ne_u32_e32 vcc, 0, v0
	v_mad_u32_u24 v19, v80, 20, v20
	s_nop 0
	v_xor_b32_e32 v4, vcc_lo, v4
	v_xor_b32_e32 v0, vcc_hi, v5
	v_and_b32_e32 v20, exec_lo, v4
	v_lshlrev_b32_e32 v5, 30, v80
	v_mov_b32_e32 v4, v1
	v_cmp_gt_i64_e32 vcc, 0, v[4:5]
	v_not_b32_e32 v4, v5
	v_ashrrev_i32_e32 v4, 31, v4
	v_and_b32_e32 v0, exec_hi, v0
	v_xor_b32_e32 v5, vcc_hi, v4
	v_xor_b32_e32 v4, vcc_lo, v4
	v_and_b32_e32 v0, v0, v5
	v_and_b32_e32 v20, v20, v4
	v_lshlrev_b32_e32 v5, 29, v80
	v_mov_b32_e32 v4, v1
	v_cmp_gt_i64_e32 vcc, 0, v[4:5]
	v_not_b32_e32 v4, v5
	v_ashrrev_i32_e32 v4, 31, v4
	v_xor_b32_e32 v5, vcc_hi, v4
	v_xor_b32_e32 v4, vcc_lo, v4
	v_and_b32_e32 v0, v0, v5
	v_and_b32_e32 v20, v20, v4
	v_lshlrev_b32_e32 v5, 28, v80
	v_mov_b32_e32 v4, v1
	v_cmp_gt_i64_e32 vcc, 0, v[4:5]
	v_not_b32_e32 v4, v5
	v_ashrrev_i32_e32 v4, 31, v4
	;; [unrolled: 9-line block ×5, first 2 shown]
	v_xor_b32_e32 v5, vcc_hi, v4
	v_xor_b32_e32 v4, vcc_lo, v4
	v_and_b32_e32 v0, v0, v5
	v_lshlrev_b32_e32 v5, 24, v80
	v_and_b32_e32 v20, v20, v4
	v_mov_b32_e32 v4, v1
	v_not_b32_e32 v1, v5
	v_cmp_gt_i64_e32 vcc, 0, v[4:5]
	v_ashrrev_i32_e32 v1, 31, v1
	; wave barrier
	s_nop 0
	v_xor_b32_e32 v4, vcc_hi, v1
	v_xor_b32_e32 v5, vcc_lo, v1
	ds_read_b32 v79, v19 offset:16
	v_and_b32_e32 v1, v0, v4
	v_and_b32_e32 v0, v20, v5
	v_mbcnt_lo_u32_b32 v4, v0, 0
	v_mbcnt_hi_u32_b32 v80, v1, v4
	v_cmp_eq_u32_e32 vcc, 0, v80
	v_cmp_ne_u64_e64 s[0:1], 0, v[0:1]
	s_and_b64 s[4:5], s[0:1], vcc
	; wave barrier
	s_and_saveexec_b64 s[0:1], s[4:5]
	s_cbranch_execz .LBB14_255
; %bb.254:
	v_bcnt_u32_b32 v0, v0, 0
	v_bcnt_u32_b32 v0, v1, v0
	s_waitcnt lgkmcnt(0)
	v_add_u32_e32 v0, v79, v0
	ds_write_b32 v19, v0 offset:16
.LBB14_255:
	s_or_b64 exec, exec, s[0:1]
	; wave barrier
	s_waitcnt lgkmcnt(0)
	s_barrier
	ds_read2_b32 v[4:5], v6 offset0:4 offset1:5
	ds_read2_b32 v[0:1], v6 offset0:6 offset1:7
	ds_read_b32 v20, v6 offset:32
	v_min_u32_e32 v8, 0xc0, v8
	v_or_b32_e32 v8, 63, v8
	s_waitcnt lgkmcnt(1)
	v_add3_u32 v81, v5, v4, v0
	s_waitcnt lgkmcnt(0)
	v_add3_u32 v20, v81, v1, v20
	v_and_b32_e32 v81, 15, v12
	v_cmp_ne_u32_e32 vcc, 0, v81
	v_mov_b32_dpp v82, v20 row_shr:1 row_mask:0xf bank_mask:0xf
	s_nop 0
	v_cndmask_b32_e32 v82, 0, v82, vcc
	v_add_u32_e32 v20, v82, v20
	v_cmp_lt_u32_e32 vcc, 1, v81
	s_nop 0
	v_mov_b32_dpp v82, v20 row_shr:2 row_mask:0xf bank_mask:0xf
	v_cndmask_b32_e32 v82, 0, v82, vcc
	v_add_u32_e32 v20, v20, v82
	v_cmp_lt_u32_e32 vcc, 3, v81
	s_nop 0
	v_mov_b32_dpp v82, v20 row_shr:4 row_mask:0xf bank_mask:0xf
	;; [unrolled: 5-line block ×3, first 2 shown]
	v_cndmask_b32_e32 v81, 0, v82, vcc
	v_add_u32_e32 v20, v20, v81
	v_bfe_i32 v82, v12, 4, 1
	v_cmp_lt_u32_e32 vcc, 31, v12
	v_mov_b32_dpp v81, v20 row_bcast:15 row_mask:0xf bank_mask:0xf
	v_and_b32_e32 v81, v82, v81
	v_add_u32_e32 v20, v20, v81
	s_nop 1
	v_mov_b32_dpp v81, v20 row_bcast:31 row_mask:0xf bank_mask:0xf
	v_cndmask_b32_e32 v81, 0, v81, vcc
	v_add_u32_e32 v20, v20, v81
	v_lshrrev_b32_e32 v81, 6, v2
	v_cmp_eq_u32_e32 vcc, v2, v8
	s_and_saveexec_b64 s[0:1], vcc
; %bb.256:
	v_lshlrev_b32_e32 v8, 2, v81
	ds_write_b32 v8, v20
; %bb.257:
	s_or_b64 exec, exec, s[0:1]
	v_cmp_gt_u32_e32 vcc, 4, v2
	s_waitcnt lgkmcnt(0)
	s_barrier
	s_and_saveexec_b64 s[0:1], vcc
	s_cbranch_execz .LBB14_259
; %bb.258:
	v_lshlrev_b32_e32 v8, 2, v2
	ds_read_b32 v82, v8
	v_and_b32_e32 v83, 3, v12
	v_cmp_ne_u32_e32 vcc, 0, v83
	s_waitcnt lgkmcnt(0)
	v_mov_b32_dpp v84, v82 row_shr:1 row_mask:0xf bank_mask:0xf
	v_cndmask_b32_e32 v84, 0, v84, vcc
	v_add_u32_e32 v82, v84, v82
	v_cmp_lt_u32_e32 vcc, 1, v83
	s_nop 0
	v_mov_b32_dpp v84, v82 row_shr:2 row_mask:0xf bank_mask:0xf
	v_cndmask_b32_e32 v83, 0, v84, vcc
	v_add_u32_e32 v82, v82, v83
	ds_write_b32 v8, v82
.LBB14_259:
	s_or_b64 exec, exec, s[0:1]
	v_cmp_lt_u32_e32 vcc, 63, v2
	v_mov_b32_e32 v8, 0
	s_waitcnt lgkmcnt(0)
	s_barrier
	s_and_saveexec_b64 s[0:1], vcc
; %bb.260:
	v_lshl_add_u32 v8, v81, 2, -4
	ds_read_b32 v8, v8
; %bb.261:
	s_or_b64 exec, exec, s[0:1]
	v_add_u32_e32 v81, -1, v12
	v_and_b32_e32 v82, 64, v12
	v_cmp_lt_i32_e32 vcc, v81, v82
	s_waitcnt lgkmcnt(0)
	v_add_u32_e32 v20, v8, v20
	s_movk_i32 s0, 0x100
	v_cndmask_b32_e32 v81, v81, v12, vcc
	v_lshlrev_b32_e32 v81, 2, v81
	ds_bpermute_b32 v20, v81, v20
	v_cmp_eq_u32_e32 vcc, 0, v12
	s_waitcnt lgkmcnt(0)
	s_nop 0
	v_cndmask_b32_e32 v8, v20, v8, vcc
	v_cmp_ne_u32_e32 vcc, 0, v2
	s_nop 1
	v_cndmask_b32_e32 v8, 0, v8, vcc
	v_add_u32_e32 v4, v8, v4
	v_add_u32_e32 v5, v4, v5
	;; [unrolled: 1-line block ×4, first 2 shown]
	ds_write2_b32 v6, v8, v4 offset0:4 offset1:5
	ds_write2_b32 v6, v5, v0 offset0:6 offset1:7
	ds_write_b32 v6, v1 offset:32
	s_waitcnt lgkmcnt(0)
	s_barrier
	ds_read_b32 v4, v45 offset:16
	ds_read_b32 v5, v50 offset:16
	;; [unrolled: 1-line block ×19, first 2 shown]
	v_add_u32_e32 v6, 1, v2
	v_cmp_ne_u32_e32 vcc, s0, v6
	v_mov_b32_e32 v1, 0x1200
	s_and_saveexec_b64 s[0:1], vcc
; %bb.262:
	v_mul_u32_u24_e32 v1, 20, v6
	ds_read_b32 v1, v1 offset:16
; %bb.263:
	s_or_b64 exec, exec, s[0:1]
	s_waitcnt lgkmcnt(7)
	v_add_u32_e32 v39, v9, v11
	s_waitcnt lgkmcnt(6)
	v_add3_u32 v34, v16, v13, v14
	s_waitcnt lgkmcnt(3)
	v_add3_u32 v28, v32, v28, v24
	v_add3_u32 v24, v47, v43, v4
	v_lshlrev_b32_e32 v4, 1, v39
	v_add3_u32 v30, v22, v17, v18
	s_waitcnt lgkmcnt(0)
	s_barrier
	ds_write_b16 v4, v7 offset:2048
	v_lshlrev_b32_e32 v4, 1, v34
	v_add3_u32 v29, v27, v23, v19
	ds_write_b16 v4, v10 offset:2048
	v_lshlrev_b32_e32 v4, 1, v30
	ds_write_b16 v4, v15 offset:2048
	v_lshlrev_b32_e32 v4, 1, v29
	v_add3_u32 v27, v37, v33, v25
	ds_write_b16 v4, v21 offset:2048
	v_lshlrev_b32_e32 v4, 1, v28
	v_add3_u32 v25, v42, v38, v70
	ds_write_b16 v4, v26 offset:2048
	v_lshlrev_b32_e32 v4, 1, v27
	ds_write_b16 v4, v31 offset:2048
	v_lshlrev_b32_e32 v4, 1, v25
	v_add3_u32 v23, v52, v48, v5
	ds_write_b16 v4, v36 offset:2048
	v_lshlrev_b32_e32 v4, 1, v24
	v_add3_u32 v22, v56, v53, v8
	;; [unrolled: 3-line block ×10, first 2 shown]
	ds_write_b16 v4, v71 offset:2048
	v_lshlrev_b32_e32 v4, 1, v13
	ds_write_b16 v4, v74 offset:2048
	v_lshlrev_b32_e32 v4, 1, v5
	ds_write_b16 v4, v77 offset:2048
	v_sub_u32_e32 v4, v1, v0
	v_lshl_add_u32 v6, s2, 8, v2
	v_mov_b32_e32 v7, 0
	v_lshl_add_u64 v[8:9], v[6:7], 2, s[94:95]
	v_or_b32_e32 v1, 2.0, v4
	s_mov_b64 s[0:1], 0
	s_brev_b32 s10, -4
	v_mov_b32_e32 v15, 0
	s_waitcnt lgkmcnt(0)
	s_barrier
	global_store_dword v[8:9], v1, off sc1
                                        ; implicit-def: $sgpr4_sgpr5
	s_branch .LBB14_266
.LBB14_264:                             ;   in Loop: Header=BB14_266 Depth=1
	s_or_b64 exec, exec, s[6:7]
.LBB14_265:                             ;   in Loop: Header=BB14_266 Depth=1
	s_or_b64 exec, exec, s[4:5]
	v_and_b32_e32 v6, 0x3fffffff, v1
	v_add_u32_e32 v15, v6, v15
	v_cmp_gt_i32_e64 s[4:5], -2.0, v1
	s_and_b64 s[6:7], exec, s[4:5]
	s_or_b64 s[0:1], s[6:7], s[0:1]
	s_andn2_b64 exec, exec, s[0:1]
	s_cbranch_execz .LBB14_271
.LBB14_266:                             ; =>This Loop Header: Depth=1
                                        ;     Child Loop BB14_269 Depth 2
	s_or_b64 s[4:5], s[4:5], exec
	s_cmp_eq_u32 s3, 0
	s_cbranch_scc1 .LBB14_270
; %bb.267:                              ;   in Loop: Header=BB14_266 Depth=1
	s_add_i32 s3, s3, -1
	v_lshl_add_u32 v6, s3, 8, v2
	v_lshl_add_u64 v[10:11], v[6:7], 2, s[94:95]
	global_load_dword v1, v[10:11], off sc1
	s_waitcnt vmcnt(0)
	v_cmp_gt_u32_e32 vcc, 2.0, v1
	s_and_saveexec_b64 s[4:5], vcc
	s_cbranch_execz .LBB14_265
; %bb.268:                              ;   in Loop: Header=BB14_266 Depth=1
	s_mov_b64 s[6:7], 0
.LBB14_269:                             ;   Parent Loop BB14_266 Depth=1
                                        ; =>  This Inner Loop Header: Depth=2
	global_load_dword v1, v[10:11], off sc1
	s_waitcnt vmcnt(0)
	v_cmp_lt_u32_e32 vcc, s10, v1
	s_or_b64 s[6:7], vcc, s[6:7]
	s_andn2_b64 exec, exec, s[6:7]
	s_cbranch_execnz .LBB14_269
	s_branch .LBB14_264
.LBB14_270:                             ;   in Loop: Header=BB14_266 Depth=1
                                        ; implicit-def: $sgpr3
	s_and_b64 s[6:7], exec, s[4:5]
	s_or_b64 s[0:1], s[6:7], s[0:1]
	s_andn2_b64 exec, exec, s[0:1]
	s_cbranch_execnz .LBB14_266
.LBB14_271:
	s_or_b64 exec, exec, s[0:1]
	v_add_u32_e32 v1, v15, v4
	v_or_b32_e32 v1, 0x80000000, v1
	v_lshlrev_b32_e32 v6, 3, v2
	global_store_dword v[8:9], v1, off sc1
	global_load_dwordx2 v[10:11], v6, s[84:85]
	v_sub_co_u32_e32 v32, vcc, v15, v0
	v_mad_i32_i24 v15, v2, -6, v6
	s_nop 0
	v_subb_co_u32_e64 v33, s[0:1], 0, 0, vcc
	v_mov_b32_e32 v1, 0
	v_lshlrev_b32_e32 v8, 1, v2
	v_mov_b32_e32 v9, v1
	v_or_b32_e32 v93, 0xc00, v2
	s_lshl_b64 s[0:1], s[92:93], 3
	s_add_u32 s0, s80, s0
	s_addc_u32 s1, s81, s1
	s_movk_i32 s3, 0x1000
	v_add_u32_e32 v94, 0xd00, v2
	v_lshlrev_b32_e32 v60, 1, v94
	v_mov_b32_e32 v61, v1
	v_add_u32_e32 v95, 0xe00, v2
	v_lshlrev_b32_e32 v76, 1, v95
	v_mov_b32_e32 v77, v1
	v_mov_b32_e32 v7, v1
	s_add_i32 s8, s8, -1
	s_cmp_lg_u32 s2, s8
	s_waitcnt vmcnt(0)
	v_lshl_add_u64 v[10:11], v[32:33], 0, v[10:11]
	ds_write_b64 v6, v[10:11]
	s_waitcnt lgkmcnt(0)
	s_barrier
	ds_read_u16 v10, v15 offset:2048
	ds_read_u16 v11, v15 offset:2560
	ds_read_u16 v21, v15 offset:3072
	ds_read_u16 v26, v15 offset:3584
	ds_read_u16 v31, v15 offset:4096
	ds_read_u16 v32, v15 offset:4608
	ds_read_u16 v33, v15 offset:5120
	ds_read_u16 v35, v15 offset:5632
	ds_read_u16 v38, v15 offset:6144
	ds_read_u16 v48, v15 offset:6656
	ds_read_u16 v49, v15 offset:7168
	ds_read_u16 v50, v15 offset:7680
	ds_read_u16 v51, v15 offset:8192
	ds_read_u16 v52, v15 offset:8704
	ds_read_u16 v68, v15 offset:9216
	ds_read_u16 v78, v15 offset:9728
	s_waitcnt lgkmcnt(14)
	v_lshrrev_b32_sdwa v36, s88, v10 dst_sel:DWORD dst_unused:UNUSED_PAD src0_sel:DWORD src1_sel:WORD_0
	v_xor_b32_e32 v53, -1, v10
	v_lshrrev_b32_sdwa v10, s88, v11 dst_sel:DWORD dst_unused:UNUSED_PAD src0_sel:DWORD src1_sel:WORD_0
	v_xor_b32_e32 v54, -1, v11
	s_waitcnt lgkmcnt(13)
	v_lshrrev_b32_sdwa v11, s88, v21 dst_sel:DWORD dst_unused:UNUSED_PAD src0_sel:DWORD src1_sel:WORD_0
	s_waitcnt lgkmcnt(12)
	v_lshrrev_b32_sdwa v37, s88, v26 dst_sel:DWORD dst_unused:UNUSED_PAD src0_sel:DWORD src1_sel:WORD_0
	s_waitcnt lgkmcnt(11)
	v_lshrrev_b32_sdwa v40, s88, v31 dst_sel:DWORD dst_unused:UNUSED_PAD src0_sel:DWORD src1_sel:WORD_0
	s_waitcnt lgkmcnt(10)
	v_lshrrev_b32_sdwa v41, s88, v32 dst_sel:DWORD dst_unused:UNUSED_PAD src0_sel:DWORD src1_sel:WORD_0
	v_xor_b32_e32 v55, -1, v32
	s_waitcnt lgkmcnt(9)
	v_lshrrev_b32_sdwa v32, s88, v33 dst_sel:DWORD dst_unused:UNUSED_PAD src0_sel:DWORD src1_sel:WORD_0
	v_xor_b32_e32 v56, -1, v33
	s_waitcnt lgkmcnt(8)
	v_lshrrev_b32_sdwa v33, s88, v35 dst_sel:DWORD dst_unused:UNUSED_PAD src0_sel:DWORD src1_sel:WORD_0
	s_waitcnt lgkmcnt(7)
	v_lshrrev_b32_sdwa v42, s88, v38 dst_sel:DWORD dst_unused:UNUSED_PAD src0_sel:DWORD src1_sel:WORD_0
	;; [unrolled: 2-line block ×3, first 2 shown]
	v_and_b32_e32 v36, s9, v36
	v_and_b32_e32 v10, s9, v10
	v_and_b32_e32 v11, s9, v11
	v_and_b32_e32 v37, s9, v37
	v_and_b32_e32 v40, s9, v40
	v_and_b32_e32 v41, s9, v41
	v_and_b32_e32 v32, s9, v32
	v_and_b32_e32 v33, s9, v33
	v_and_b32_e32 v42, s9, v42
	v_and_b32_e32 v43, s9, v43
	v_lshlrev_b32_e32 v79, 3, v36
	v_lshlrev_b32_e32 v80, 3, v10
	;; [unrolled: 1-line block ×10, first 2 shown]
	ds_read_b64 v[10:11], v79
	ds_read_b64 v[32:33], v80
	;; [unrolled: 1-line block ×7, first 2 shown]
	ds_read_u16 v89, v15 offset:10240
	ds_read_u16 v15, v15 offset:10752
	s_waitcnt lgkmcnt(8)
	v_lshl_add_u64 v[10:11], v[10:11], 1, s[78:79]
	s_waitcnt lgkmcnt(7)
	v_lshl_add_u64 v[32:33], v[32:33], 1, s[78:79]
	;; [unrolled: 2-line block ×6, first 2 shown]
	v_lshl_add_u64 v[10:11], v[10:11], 0, v[8:9]
	v_xor_b32_e32 v21, -1, v21
	v_xor_b32_e32 v26, -1, v26
	;; [unrolled: 1-line block ×3, first 2 shown]
	v_lshl_add_u64 v[32:33], v[32:33], 0, v[8:9]
	v_lshl_add_u64 v[36:37], v[36:37], 0, v[8:9]
	;; [unrolled: 1-line block ×5, first 2 shown]
	global_store_short v[10:11], v53, off
	global_store_short v[32:33], v54, off offset:512
	global_store_short v[36:37], v21, off offset:1024
	;; [unrolled: 1-line block ×5, first 2 shown]
	ds_read_b64 v[10:11], v86
	ds_read_b64 v[32:33], v87
	;; [unrolled: 1-line block ×3, first 2 shown]
	s_waitcnt lgkmcnt(5)
	v_lshl_add_u64 v[40:41], v[46:47], 1, s[78:79]
	v_lshl_add_u64 v[40:41], v[40:41], 0, v[8:9]
	s_waitcnt lgkmcnt(2)
	v_lshl_add_u64 v[10:11], v[10:11], 1, s[78:79]
	v_xor_b32_e32 v21, -1, v35
	v_lshl_add_u64 v[8:9], v[10:11], 0, v[8:9]
	global_store_short v[40:41], v56, off offset:3072
	global_store_short v[8:9], v21, off offset:3584
	v_or_b32_e32 v21, 0x800, v2
	s_waitcnt lgkmcnt(1)
	v_lshl_add_u64 v[8:9], v[32:33], 1, s[78:79]
	v_lshlrev_b32_e32 v10, 1, v21
	v_mov_b32_e32 v11, v1
	v_xor_b32_e32 v26, -1, v38
	v_lshl_add_u64 v[8:9], v[8:9], 0, v[10:11]
	global_store_short v[8:9], v26, off
	v_add_u32_e32 v26, 0x900, v2
	s_waitcnt lgkmcnt(0)
	v_lshl_add_u64 v[8:9], v[36:37], 1, s[78:79]
	v_lshlrev_b32_e32 v10, 1, v26
	v_xor_b32_e32 v31, -1, v48
	v_lshl_add_u64 v[8:9], v[8:9], 0, v[10:11]
	global_store_short v[8:9], v31, off
	v_lshrrev_b32_sdwa v8, s88, v49 dst_sel:DWORD dst_unused:UNUSED_PAD src0_sel:DWORD src1_sel:WORD_0
	v_and_b32_e32 v8, s9, v8
	v_lshlrev_b32_e32 v38, 3, v8
	v_lshrrev_b32_sdwa v10, s88, v50 dst_sel:DWORD dst_unused:UNUSED_PAD src0_sel:DWORD src1_sel:WORD_0
	ds_read_b64 v[8:9], v38
	v_and_b32_e32 v10, s9, v10
	v_lshlrev_b32_e32 v90, 3, v10
	v_lshrrev_b32_sdwa v10, s88, v51 dst_sel:DWORD dst_unused:UNUSED_PAD src0_sel:DWORD src1_sel:WORD_0
	v_and_b32_e32 v10, s9, v10
	v_lshlrev_b32_e32 v91, 3, v10
	v_lshrrev_b32_sdwa v10, s88, v52 dst_sel:DWORD dst_unused:UNUSED_PAD src0_sel:DWORD src1_sel:WORD_0
	v_add_u32_e32 v31, 0xa00, v2
	v_and_b32_e32 v10, s9, v10
	v_lshlrev_b32_e32 v92, 3, v10
	ds_read_b64 v[10:11], v90
	ds_read_b64 v[32:33], v91
	;; [unrolled: 1-line block ×3, first 2 shown]
	s_waitcnt lgkmcnt(3)
	v_lshl_add_u64 v[8:9], v[8:9], 1, s[78:79]
	v_lshlrev_b32_e32 v40, 1, v31
	v_mov_b32_e32 v41, v1
	v_xor_b32_e32 v35, -1, v49
	v_lshl_add_u64 v[8:9], v[8:9], 0, v[40:41]
	global_store_short v[8:9], v35, off
	v_add_u32_e32 v35, 0xb00, v2
	s_waitcnt lgkmcnt(2)
	v_lshl_add_u64 v[8:9], v[10:11], 1, s[78:79]
	v_lshlrev_b32_e32 v10, 1, v35
	v_mov_b32_e32 v11, v1
	v_xor_b32_e32 v40, -1, v50
	v_lshl_add_u64 v[8:9], v[8:9], 0, v[10:11]
	global_store_short v[8:9], v40, off
	s_waitcnt lgkmcnt(1)
	v_lshl_add_u64 v[8:9], v[32:33], 1, s[78:79]
	v_lshlrev_b32_e32 v10, 1, v93
	v_xor_b32_e32 v40, -1, v51
	v_lshl_add_u64 v[8:9], v[8:9], 0, v[10:11]
	global_store_short v[8:9], v40, off
	v_lshlrev_b32_e32 v8, 3, v12
	v_mov_b32_e32 v9, v1
	v_lshl_add_u64 v[8:9], s[0:1], 0, v[8:9]
	v_lshlrev_b32_e32 v10, 3, v3
	v_lshl_add_u64 v[8:9], v[8:9], 0, v[10:11]
	s_movk_i32 s0, 0x2000
	v_xor_b32_e32 v66, -1, v52
	v_add_co_u32_e32 v52, vcc, s0, v8
	global_load_dwordx2 v[10:11], v[8:9], off
	global_load_dwordx2 v[32:33], v[8:9], off offset:512
	global_load_dwordx2 v[40:41], v[8:9], off offset:1024
	;; [unrolled: 1-line block ×7, first 2 shown]
	v_addc_co_u32_e32 v53, vcc, 0, v9, vcc
	v_add_co_u32_e32 v8, vcc, s3, v8
	global_load_dwordx2 v[54:55], v[52:53], off offset:-4096
	s_nop 0
	v_addc_co_u32_e32 v9, vcc, 0, v9, vcc
	global_load_dwordx2 v[56:57], v[8:9], off offset:512
	global_load_dwordx2 v[58:59], v[8:9], off offset:1024
	;; [unrolled: 1-line block ×4, first 2 shown]
	s_waitcnt lgkmcnt(0)
	v_lshl_add_u64 v[36:37], v[36:37], 1, s[78:79]
	v_lshl_add_u64 v[36:37], v[36:37], 0, v[60:61]
	global_load_dwordx2 v[60:61], v[8:9], off offset:2560
	v_lshrrev_b32_sdwa v3, s88, v68 dst_sel:DWORD dst_unused:UNUSED_PAD src0_sel:DWORD src1_sel:WORD_0
	global_store_short v[36:37], v66, off
	global_load_dwordx2 v[36:37], v[8:9], off offset:3072
	v_and_b32_e32 v3, s9, v3
	global_load_dwordx2 v[8:9], v[8:9], off offset:3584
	v_lshlrev_b32_e32 v96, 3, v3
	global_load_dwordx2 v[66:67], v[52:53], off
	v_lshrrev_b32_sdwa v3, s88, v78 dst_sel:DWORD dst_unused:UNUSED_PAD src0_sel:DWORD src1_sel:WORD_0
	global_load_dwordx2 v[52:53], v[52:53], off offset:512
	v_and_b32_e32 v3, s9, v3
	v_xor_b32_e32 v12, -1, v68
	ds_read_b64 v[68:69], v96
	v_lshlrev_b32_e32 v97, 3, v3
	v_lshrrev_b32_sdwa v3, s88, v89 dst_sel:DWORD dst_unused:UNUSED_PAD src0_sel:DWORD src1_sel:WORD_0
	v_and_b32_e32 v3, s9, v3
	v_lshlrev_b32_e32 v98, 3, v3
	v_lshrrev_b32_sdwa v3, s88, v15 dst_sel:DWORD dst_unused:UNUSED_PAD src0_sel:DWORD src1_sel:WORD_0
	v_and_b32_e32 v3, s9, v3
	v_lshlrev_b32_e32 v99, 3, v3
	ds_read_b64 v[70:71], v97
	ds_read_b64 v[72:73], v98
	;; [unrolled: 1-line block ×3, first 2 shown]
	s_waitcnt lgkmcnt(3)
	v_lshl_add_u64 v[68:69], v[68:69], 1, s[78:79]
	v_lshl_add_u64 v[68:69], v[68:69], 0, v[76:77]
	v_add_u32_e32 v76, 0xf00, v2
	global_store_short v[68:69], v12, off
	s_waitcnt lgkmcnt(2)
	v_lshl_add_u64 v[68:69], v[70:71], 1, s[78:79]
	v_lshlrev_b32_e32 v70, 1, v76
	v_mov_b32_e32 v71, v1
	v_xor_b32_e32 v3, -1, v78
	v_lshl_add_u64 v[68:69], v[68:69], 0, v[70:71]
	v_or_b32_e32 v77, 0x1000, v2
	global_store_short v[68:69], v3, off
	s_waitcnt lgkmcnt(1)
	v_lshl_add_u64 v[68:69], v[72:73], 1, s[78:79]
	v_lshlrev_b32_e32 v70, 1, v77
	v_xor_b32_e32 v3, -1, v89
	v_lshl_add_u64 v[68:69], v[68:69], 0, v[70:71]
	v_add_u32_e32 v70, 0x1100, v2
	global_store_short v[68:69], v3, off
	s_waitcnt lgkmcnt(0)
	v_lshl_add_u64 v[2:3], v[74:75], 1, s[78:79]
	v_lshlrev_b32_e32 v68, 1, v70
	v_mov_b32_e32 v69, v1
	v_xor_b32_e32 v12, -1, v15
	v_lshl_add_u64 v[2:3], v[2:3], 0, v[68:69]
	global_store_short v[2:3], v12, off
	v_lshlrev_b32_e32 v2, 3, v39
	s_barrier
	s_waitcnt vmcnt(22)
	ds_write_b64 v2, v[10:11] offset:2048
	v_lshlrev_b32_e32 v2, 3, v34
	s_waitcnt vmcnt(21)
	ds_write_b64 v2, v[32:33] offset:2048
	v_lshlrev_b32_e32 v2, 3, v30
	;; [unrolled: 3-line block ×17, first 2 shown]
	s_waitcnt vmcnt(4)
	ds_write_b64 v2, v[52:53] offset:2048
	s_waitcnt lgkmcnt(0)
	s_barrier
	ds_read_b64 v[2:3], v79
	ds_read2st64_b64 v[8:11], v6 offset0:4 offset1:8
	ds_read_b64 v[12:13], v80
	ds_read_b64 v[14:15], v81
	;; [unrolled: 1-line block ×3, first 2 shown]
	s_waitcnt lgkmcnt(4)
	v_lshl_add_u64 v[2:3], v[2:3], 3, s[82:83]
	v_lshl_add_u64 v[2:3], v[2:3], 0, v[6:7]
	s_waitcnt lgkmcnt(3)
	global_store_dwordx2 v[2:3], v[8:9], off
	s_waitcnt lgkmcnt(2)
	v_lshl_add_u64 v[2:3], v[12:13], 3, s[82:83]
	v_lshl_add_u64 v[2:3], v[2:3], 0, v[6:7]
	global_store_dwordx2 v[2:3], v[10:11], off offset:2048
	ds_read2st64_b64 v[8:11], v6 offset0:12 offset1:16
	s_waitcnt lgkmcnt(2)
	v_lshl_add_u64 v[2:3], v[14:15], 3, s[82:83]
	v_add_u32_e32 v12, 0x1000, v6
	v_mov_b32_e32 v13, v1
	v_lshl_add_u64 v[2:3], v[2:3], 0, v[12:13]
	s_waitcnt lgkmcnt(0)
	global_store_dwordx2 v[2:3], v[8:9], off
	v_lshl_add_u64 v[2:3], v[16:17], 3, s[82:83]
	v_add_u32_e32 v8, 0x1800, v6
	v_mov_b32_e32 v9, v1
	v_lshl_add_u64 v[2:3], v[2:3], 0, v[8:9]
	global_store_dwordx2 v[2:3], v[10:11], off
	ds_read_b64 v[2:3], v83
	ds_read2st64_b64 v[8:11], v6 offset0:20 offset1:24
	ds_read_b64 v[12:13], v84
	ds_read_b64 v[14:15], v85
	;; [unrolled: 1-line block ×3, first 2 shown]
	s_waitcnt lgkmcnt(4)
	v_lshl_add_u64 v[2:3], v[2:3], 3, s[82:83]
	v_or_b32_e32 v18, 0x2000, v6
	v_mov_b32_e32 v19, v1
	v_lshl_add_u64 v[2:3], v[2:3], 0, v[18:19]
	s_waitcnt lgkmcnt(3)
	global_store_dwordx2 v[2:3], v[8:9], off
	s_waitcnt lgkmcnt(2)
	v_lshl_add_u64 v[2:3], v[12:13], 3, s[82:83]
	v_add_u32_e32 v8, 0x2800, v6
	v_mov_b32_e32 v9, v1
	v_lshl_add_u64 v[2:3], v[2:3], 0, v[8:9]
	global_store_dwordx2 v[2:3], v[10:11], off
	ds_read2st64_b64 v[8:11], v6 offset0:28 offset1:32
	s_waitcnt lgkmcnt(2)
	v_lshl_add_u64 v[2:3], v[14:15], 3, s[82:83]
	v_add_u32_e32 v12, 0x3000, v6
	v_mov_b32_e32 v13, v1
	v_lshl_add_u64 v[2:3], v[2:3], 0, v[12:13]
	s_waitcnt lgkmcnt(0)
	global_store_dwordx2 v[2:3], v[8:9], off
	v_lshl_add_u64 v[2:3], v[16:17], 3, s[82:83]
	v_add_u32_e32 v8, 0x3800, v6
	v_mov_b32_e32 v9, v1
	v_lshl_add_u64 v[2:3], v[2:3], 0, v[8:9]
	global_store_dwordx2 v[2:3], v[10:11], off
	ds_read_b64 v[2:3], v87
	ds_read2st64_b64 v[8:11], v6 offset0:36 offset1:40
	ds_read_b64 v[12:13], v88
	ds_read_b64 v[14:15], v38
	ds_read_b64 v[16:17], v90
	s_waitcnt lgkmcnt(4)
	v_lshl_add_u64 v[2:3], v[2:3], 3, s[82:83]
	v_lshlrev_b32_e32 v18, 3, v21
	v_lshl_add_u64 v[2:3], v[2:3], 0, v[18:19]
	s_waitcnt lgkmcnt(3)
	global_store_dwordx2 v[2:3], v[8:9], off
	s_waitcnt lgkmcnt(2)
	v_lshl_add_u64 v[2:3], v[12:13], 3, s[82:83]
	v_lshlrev_b32_e32 v8, 3, v26
	v_mov_b32_e32 v9, v1
	v_lshl_add_u64 v[2:3], v[2:3], 0, v[8:9]
	global_store_dwordx2 v[2:3], v[10:11], off
	ds_read2st64_b64 v[8:11], v6 offset0:44 offset1:48
	s_waitcnt lgkmcnt(2)
	v_lshl_add_u64 v[2:3], v[14:15], 3, s[82:83]
	v_lshlrev_b32_e32 v12, 3, v31
	v_mov_b32_e32 v13, v1
	v_lshl_add_u64 v[2:3], v[2:3], 0, v[12:13]
	s_waitcnt lgkmcnt(0)
	global_store_dwordx2 v[2:3], v[8:9], off
	v_lshl_add_u64 v[2:3], v[16:17], 3, s[82:83]
	v_lshlrev_b32_e32 v8, 3, v35
	v_mov_b32_e32 v9, v1
	v_lshl_add_u64 v[2:3], v[2:3], 0, v[8:9]
	global_store_dwordx2 v[2:3], v[10:11], off
	ds_read_b64 v[2:3], v91
	ds_read2st64_b64 v[8:11], v6 offset0:52 offset1:56
	ds_read_b64 v[12:13], v92
	ds_read_b64 v[14:15], v96
	;; [unrolled: 1-line block ×3, first 2 shown]
	s_waitcnt lgkmcnt(4)
	v_lshl_add_u64 v[2:3], v[2:3], 3, s[82:83]
	v_lshlrev_b32_e32 v18, 3, v93
	v_lshl_add_u64 v[2:3], v[2:3], 0, v[18:19]
	s_waitcnt lgkmcnt(3)
	global_store_dwordx2 v[2:3], v[8:9], off
	s_waitcnt lgkmcnt(2)
	v_lshl_add_u64 v[2:3], v[12:13], 3, s[82:83]
	v_lshlrev_b32_e32 v8, 3, v94
	v_mov_b32_e32 v9, v1
	v_lshl_add_u64 v[2:3], v[2:3], 0, v[8:9]
	global_store_dwordx2 v[2:3], v[10:11], off
	ds_read2st64_b64 v[8:11], v6 offset0:60 offset1:64
	s_waitcnt lgkmcnt(2)
	v_lshl_add_u64 v[2:3], v[14:15], 3, s[82:83]
	v_lshlrev_b32_e32 v12, 3, v95
	v_mov_b32_e32 v13, v1
	v_lshl_add_u64 v[2:3], v[2:3], 0, v[12:13]
	s_waitcnt lgkmcnt(0)
	global_store_dwordx2 v[2:3], v[8:9], off
	v_lshl_add_u64 v[2:3], v[16:17], 3, s[82:83]
	v_lshlrev_b32_e32 v8, 3, v76
	v_mov_b32_e32 v9, v1
	ds_read_b64 v[12:13], v98
	v_lshl_add_u64 v[2:3], v[2:3], 0, v[8:9]
	global_store_dwordx2 v[2:3], v[10:11], off
	ds_read2st64_b64 v[8:11], v6 offset0:68 offset1:72
	ds_read_b64 v[2:3], v99
	v_lshlrev_b32_e32 v14, 3, v77
	s_waitcnt lgkmcnt(2)
	v_lshl_add_u64 v[12:13], v[12:13], 3, s[82:83]
	v_mov_b32_e32 v15, v1
	v_lshl_add_u64 v[12:13], v[12:13], 0, v[14:15]
	s_waitcnt lgkmcnt(1)
	global_store_dwordx2 v[12:13], v[8:9], off
	s_waitcnt lgkmcnt(0)
	v_lshl_add_u64 v[2:3], v[2:3], 3, s[82:83]
	v_lshlrev_b32_e32 v8, 3, v70
	v_mov_b32_e32 v9, v1
	v_lshl_add_u64 v[2:3], v[2:3], 0, v[8:9]
	global_store_dwordx2 v[2:3], v[10:11], off
	s_cbranch_scc1 .LBB14_273
; %bb.272:
	ds_read_b64 v[2:3], v6
	v_mov_b32_e32 v5, v1
	v_lshl_add_u64 v[0:1], v[4:5], 0, v[0:1]
	s_waitcnt lgkmcnt(0)
	v_lshl_add_u64 v[0:1], v[0:1], 0, v[2:3]
	global_store_dwordx2 v6, v[0:1], s[86:87]
.LBB14_273:
	s_endpgm
.LBB14_274:
	s_or_b64 exec, exec, s[4:5]
	s_and_saveexec_b64 s[4:5], s[40:41]
	s_cbranch_execz .LBB14_199
.LBB14_275:
	v_lshlrev_b32_e32 v2, 3, v56
	ds_read_b64 v[28:29], v2
	ds_read_b64 v[30:31], v8 offset:4096
	v_mov_b32_e32 v9, 0
	s_waitcnt lgkmcnt(1)
	v_lshl_add_u64 v[28:29], v[28:29], 3, s[82:83]
	v_lshl_add_u64 v[28:29], v[28:29], 0, v[8:9]
	s_waitcnt lgkmcnt(0)
	global_store_dwordx2 v[28:29], v[30:31], off offset:2048
	s_or_b64 exec, exec, s[4:5]
	s_and_saveexec_b64 s[4:5], s[42:43]
	s_cbranch_execnz .LBB14_200
.LBB14_276:
	s_or_b64 exec, exec, s[4:5]
	s_and_saveexec_b64 s[4:5], s[44:45]
	s_cbranch_execz .LBB14_201
.LBB14_277:
	v_lshlrev_b32_e32 v2, 3, v54
	ds_read_b64 v[28:29], v2
	ds_read_b64 v[30:31], v8 offset:8192
	v_lshlrev_b32_e32 v12, 3, v13
	v_mov_b32_e32 v13, 0
	s_waitcnt lgkmcnt(1)
	v_lshl_add_u64 v[28:29], v[28:29], 3, s[82:83]
	v_lshl_add_u64 v[12:13], v[28:29], 0, v[12:13]
	s_waitcnt lgkmcnt(0)
	global_store_dwordx2 v[12:13], v[30:31], off
	s_or_b64 exec, exec, s[4:5]
	s_and_saveexec_b64 s[4:5], s[46:47]
	s_cbranch_execnz .LBB14_202
.LBB14_278:
	s_or_b64 exec, exec, s[4:5]
	s_and_saveexec_b64 s[4:5], s[48:49]
	s_cbranch_execz .LBB14_203
.LBB14_279:
	v_lshlrev_b32_e32 v2, 3, v52
	ds_read_b64 v[12:13], v2
	ds_read_b64 v[28:29], v8 offset:12288
	v_lshlrev_b32_e32 v30, 3, v16
	v_mov_b32_e32 v31, 0
	s_waitcnt lgkmcnt(1)
	v_lshl_add_u64 v[12:13], v[12:13], 3, s[82:83]
	v_lshl_add_u64 v[12:13], v[12:13], 0, v[30:31]
	s_waitcnt lgkmcnt(0)
	global_store_dwordx2 v[12:13], v[28:29], off
	s_or_b64 exec, exec, s[4:5]
	s_and_saveexec_b64 s[4:5], s[50:51]
	s_cbranch_execnz .LBB14_204
.LBB14_280:
	s_or_b64 exec, exec, s[4:5]
	s_and_saveexec_b64 s[4:5], s[52:53]
	s_cbranch_execz .LBB14_205
.LBB14_281:
	v_lshlrev_b32_e32 v2, 3, v50
	ds_read_b64 v[12:13], v2
	ds_read_b64 v[16:17], v8 offset:16384
	v_lshlrev_b32_e32 v18, 3, v18
	v_mov_b32_e32 v19, 0
	s_waitcnt lgkmcnt(1)
	v_lshl_add_u64 v[12:13], v[12:13], 3, s[82:83]
	v_lshl_add_u64 v[12:13], v[12:13], 0, v[18:19]
	s_waitcnt lgkmcnt(0)
	global_store_dwordx2 v[12:13], v[16:17], off
	s_or_b64 exec, exec, s[4:5]
	s_and_saveexec_b64 s[4:5], s[54:55]
	s_cbranch_execnz .LBB14_206
.LBB14_282:
	s_or_b64 exec, exec, s[4:5]
	s_and_saveexec_b64 s[4:5], s[56:57]
	s_cbranch_execz .LBB14_207
.LBB14_283:
	v_lshlrev_b32_e32 v2, 3, v47
	ds_read_b64 v[12:13], v2
	ds_read_b64 v[16:17], v8 offset:20480
	v_lshlrev_b32_e32 v18, 3, v21
	v_mov_b32_e32 v19, 0
	s_waitcnt lgkmcnt(1)
	v_lshl_add_u64 v[12:13], v[12:13], 3, s[82:83]
	v_lshl_add_u64 v[12:13], v[12:13], 0, v[18:19]
	s_waitcnt lgkmcnt(0)
	global_store_dwordx2 v[12:13], v[16:17], off
	s_or_b64 exec, exec, s[4:5]
	s_and_saveexec_b64 s[4:5], s[58:59]
	s_cbranch_execnz .LBB14_208
.LBB14_284:
	s_or_b64 exec, exec, s[4:5]
	s_and_saveexec_b64 s[4:5], s[60:61]
	s_cbranch_execz .LBB14_209
.LBB14_285:
	v_lshlrev_b32_e32 v2, 3, v44
	ds_read_b64 v[12:13], v2
	ds_read_b64 v[16:17], v8 offset:24576
	v_lshlrev_b32_e32 v18, 3, v23
	v_mov_b32_e32 v19, 0
	s_waitcnt lgkmcnt(1)
	v_lshl_add_u64 v[12:13], v[12:13], 3, s[82:83]
	v_lshl_add_u64 v[12:13], v[12:13], 0, v[18:19]
	s_waitcnt lgkmcnt(0)
	global_store_dwordx2 v[12:13], v[16:17], off
	s_or_b64 exec, exec, s[4:5]
	s_and_saveexec_b64 s[4:5], s[62:63]
	s_cbranch_execnz .LBB14_210
.LBB14_286:
	s_or_b64 exec, exec, s[4:5]
	s_and_saveexec_b64 s[4:5], s[64:65]
	s_cbranch_execz .LBB14_211
.LBB14_287:
	v_lshlrev_b32_e32 v2, 3, v11
	ds_read_b64 v[12:13], v2
	ds_read_b64 v[16:17], v8 offset:28672
	v_lshlrev_b32_e32 v18, 3, v25
	v_mov_b32_e32 v19, 0
	s_waitcnt lgkmcnt(1)
	v_lshl_add_u64 v[12:13], v[12:13], 3, s[82:83]
	v_lshl_add_u64 v[12:13], v[12:13], 0, v[18:19]
	s_waitcnt lgkmcnt(0)
	global_store_dwordx2 v[12:13], v[16:17], off
	s_or_b64 exec, exec, s[4:5]
	s_and_saveexec_b64 s[4:5], s[66:67]
	s_cbranch_execnz .LBB14_212
.LBB14_288:
	s_or_b64 exec, exec, s[4:5]
	s_and_saveexec_b64 s[4:5], s[68:69]
	s_cbranch_execz .LBB14_213
.LBB14_289:
	v_lshlrev_b32_e32 v2, 3, v10
	ds_read_b64 v[10:11], v2
	ds_read_b64 v[12:13], v8 offset:32768
	v_lshlrev_b32_e32 v16, 3, v27
	v_mov_b32_e32 v17, 0
	s_waitcnt lgkmcnt(1)
	v_lshl_add_u64 v[10:11], v[10:11], 3, s[82:83]
	v_lshl_add_u64 v[10:11], v[10:11], 0, v[16:17]
	s_waitcnt lgkmcnt(0)
	global_store_dwordx2 v[10:11], v[12:13], off
	s_or_b64 exec, exec, s[4:5]
	s_and_saveexec_b64 s[4:5], s[70:71]
	s_cbranch_execnz .LBB14_214
.LBB14_290:
	s_or_b64 exec, exec, s[4:5]
	s_and_saveexec_b64 s[4:5], s[72:73]
	s_cbranch_execz .LBB14_215
.LBB14_291:
	v_lshlrev_b32_e32 v2, 3, v3
	ds_read_b64 v[2:3], v2
	ds_read_b64 v[10:11], v8 offset:36864
	v_lshlrev_b32_e32 v12, 3, v43
	v_mov_b32_e32 v13, 0
	s_waitcnt lgkmcnt(1)
	v_lshl_add_u64 v[2:3], v[2:3], 3, s[82:83]
	v_lshl_add_u64 v[2:3], v[2:3], 0, v[12:13]
	s_waitcnt lgkmcnt(0)
	global_store_dwordx2 v[2:3], v[10:11], off
	s_or_b64 exec, exec, s[4:5]
	s_add_i32 s33, s33, -1
	s_cmp_eq_u32 s2, s33
	s_cbranch_scc1 .LBB14_216
	s_branch .LBB14_217
	.section	.rodata,"a",@progbits
	.p2align	6, 0x0
	.amdhsa_kernel _ZN7rocprim17ROCPRIM_304000_NS6detail25onesweep_iteration_kernelINS1_34wrapped_radix_sort_onesweep_configINS0_14default_configEtN2at4cuda3cub6detail10OpaqueTypeILi8EEEEELb1EPKtPtPKSA_PSA_mNS0_19identity_decomposerEEEvT1_T2_T3_T4_jPT5_SO_PNS1_23onesweep_lookback_stateET6_jjj
		.amdhsa_group_segment_fixed_size 38912
		.amdhsa_private_segment_fixed_size 0
		.amdhsa_kernarg_size 336
		.amdhsa_user_sgpr_count 2
		.amdhsa_user_sgpr_dispatch_ptr 0
		.amdhsa_user_sgpr_queue_ptr 0
		.amdhsa_user_sgpr_kernarg_segment_ptr 1
		.amdhsa_user_sgpr_dispatch_id 0
		.amdhsa_user_sgpr_kernarg_preload_length 0
		.amdhsa_user_sgpr_kernarg_preload_offset 0
		.amdhsa_user_sgpr_private_segment_size 0
		.amdhsa_uses_dynamic_stack 0
		.amdhsa_enable_private_segment 0
		.amdhsa_system_sgpr_workgroup_id_x 1
		.amdhsa_system_sgpr_workgroup_id_y 0
		.amdhsa_system_sgpr_workgroup_id_z 0
		.amdhsa_system_sgpr_workgroup_info 0
		.amdhsa_system_vgpr_workitem_id 2
		.amdhsa_next_free_vgpr 100
		.amdhsa_next_free_sgpr 97
		.amdhsa_accum_offset 100
		.amdhsa_reserve_vcc 1
		.amdhsa_float_round_mode_32 0
		.amdhsa_float_round_mode_16_64 0
		.amdhsa_float_denorm_mode_32 3
		.amdhsa_float_denorm_mode_16_64 3
		.amdhsa_dx10_clamp 1
		.amdhsa_ieee_mode 1
		.amdhsa_fp16_overflow 0
		.amdhsa_tg_split 0
		.amdhsa_exception_fp_ieee_invalid_op 0
		.amdhsa_exception_fp_denorm_src 0
		.amdhsa_exception_fp_ieee_div_zero 0
		.amdhsa_exception_fp_ieee_overflow 0
		.amdhsa_exception_fp_ieee_underflow 0
		.amdhsa_exception_fp_ieee_inexact 0
		.amdhsa_exception_int_div_zero 0
	.end_amdhsa_kernel
	.section	.text._ZN7rocprim17ROCPRIM_304000_NS6detail25onesweep_iteration_kernelINS1_34wrapped_radix_sort_onesweep_configINS0_14default_configEtN2at4cuda3cub6detail10OpaqueTypeILi8EEEEELb1EPKtPtPKSA_PSA_mNS0_19identity_decomposerEEEvT1_T2_T3_T4_jPT5_SO_PNS1_23onesweep_lookback_stateET6_jjj,"axG",@progbits,_ZN7rocprim17ROCPRIM_304000_NS6detail25onesweep_iteration_kernelINS1_34wrapped_radix_sort_onesweep_configINS0_14default_configEtN2at4cuda3cub6detail10OpaqueTypeILi8EEEEELb1EPKtPtPKSA_PSA_mNS0_19identity_decomposerEEEvT1_T2_T3_T4_jPT5_SO_PNS1_23onesweep_lookback_stateET6_jjj,comdat
.Lfunc_end14:
	.size	_ZN7rocprim17ROCPRIM_304000_NS6detail25onesweep_iteration_kernelINS1_34wrapped_radix_sort_onesweep_configINS0_14default_configEtN2at4cuda3cub6detail10OpaqueTypeILi8EEEEELb1EPKtPtPKSA_PSA_mNS0_19identity_decomposerEEEvT1_T2_T3_T4_jPT5_SO_PNS1_23onesweep_lookback_stateET6_jjj, .Lfunc_end14-_ZN7rocprim17ROCPRIM_304000_NS6detail25onesweep_iteration_kernelINS1_34wrapped_radix_sort_onesweep_configINS0_14default_configEtN2at4cuda3cub6detail10OpaqueTypeILi8EEEEELb1EPKtPtPKSA_PSA_mNS0_19identity_decomposerEEEvT1_T2_T3_T4_jPT5_SO_PNS1_23onesweep_lookback_stateET6_jjj
                                        ; -- End function
	.set _ZN7rocprim17ROCPRIM_304000_NS6detail25onesweep_iteration_kernelINS1_34wrapped_radix_sort_onesweep_configINS0_14default_configEtN2at4cuda3cub6detail10OpaqueTypeILi8EEEEELb1EPKtPtPKSA_PSA_mNS0_19identity_decomposerEEEvT1_T2_T3_T4_jPT5_SO_PNS1_23onesweep_lookback_stateET6_jjj.num_vgpr, 100
	.set _ZN7rocprim17ROCPRIM_304000_NS6detail25onesweep_iteration_kernelINS1_34wrapped_radix_sort_onesweep_configINS0_14default_configEtN2at4cuda3cub6detail10OpaqueTypeILi8EEEEELb1EPKtPtPKSA_PSA_mNS0_19identity_decomposerEEEvT1_T2_T3_T4_jPT5_SO_PNS1_23onesweep_lookback_stateET6_jjj.num_agpr, 0
	.set _ZN7rocprim17ROCPRIM_304000_NS6detail25onesweep_iteration_kernelINS1_34wrapped_radix_sort_onesweep_configINS0_14default_configEtN2at4cuda3cub6detail10OpaqueTypeILi8EEEEELb1EPKtPtPKSA_PSA_mNS0_19identity_decomposerEEEvT1_T2_T3_T4_jPT5_SO_PNS1_23onesweep_lookback_stateET6_jjj.numbered_sgpr, 97
	.set _ZN7rocprim17ROCPRIM_304000_NS6detail25onesweep_iteration_kernelINS1_34wrapped_radix_sort_onesweep_configINS0_14default_configEtN2at4cuda3cub6detail10OpaqueTypeILi8EEEEELb1EPKtPtPKSA_PSA_mNS0_19identity_decomposerEEEvT1_T2_T3_T4_jPT5_SO_PNS1_23onesweep_lookback_stateET6_jjj.num_named_barrier, 0
	.set _ZN7rocprim17ROCPRIM_304000_NS6detail25onesweep_iteration_kernelINS1_34wrapped_radix_sort_onesweep_configINS0_14default_configEtN2at4cuda3cub6detail10OpaqueTypeILi8EEEEELb1EPKtPtPKSA_PSA_mNS0_19identity_decomposerEEEvT1_T2_T3_T4_jPT5_SO_PNS1_23onesweep_lookback_stateET6_jjj.private_seg_size, 0
	.set _ZN7rocprim17ROCPRIM_304000_NS6detail25onesweep_iteration_kernelINS1_34wrapped_radix_sort_onesweep_configINS0_14default_configEtN2at4cuda3cub6detail10OpaqueTypeILi8EEEEELb1EPKtPtPKSA_PSA_mNS0_19identity_decomposerEEEvT1_T2_T3_T4_jPT5_SO_PNS1_23onesweep_lookback_stateET6_jjj.uses_vcc, 1
	.set _ZN7rocprim17ROCPRIM_304000_NS6detail25onesweep_iteration_kernelINS1_34wrapped_radix_sort_onesweep_configINS0_14default_configEtN2at4cuda3cub6detail10OpaqueTypeILi8EEEEELb1EPKtPtPKSA_PSA_mNS0_19identity_decomposerEEEvT1_T2_T3_T4_jPT5_SO_PNS1_23onesweep_lookback_stateET6_jjj.uses_flat_scratch, 0
	.set _ZN7rocprim17ROCPRIM_304000_NS6detail25onesweep_iteration_kernelINS1_34wrapped_radix_sort_onesweep_configINS0_14default_configEtN2at4cuda3cub6detail10OpaqueTypeILi8EEEEELb1EPKtPtPKSA_PSA_mNS0_19identity_decomposerEEEvT1_T2_T3_T4_jPT5_SO_PNS1_23onesweep_lookback_stateET6_jjj.has_dyn_sized_stack, 0
	.set _ZN7rocprim17ROCPRIM_304000_NS6detail25onesweep_iteration_kernelINS1_34wrapped_radix_sort_onesweep_configINS0_14default_configEtN2at4cuda3cub6detail10OpaqueTypeILi8EEEEELb1EPKtPtPKSA_PSA_mNS0_19identity_decomposerEEEvT1_T2_T3_T4_jPT5_SO_PNS1_23onesweep_lookback_stateET6_jjj.has_recursion, 0
	.set _ZN7rocprim17ROCPRIM_304000_NS6detail25onesweep_iteration_kernelINS1_34wrapped_radix_sort_onesweep_configINS0_14default_configEtN2at4cuda3cub6detail10OpaqueTypeILi8EEEEELb1EPKtPtPKSA_PSA_mNS0_19identity_decomposerEEEvT1_T2_T3_T4_jPT5_SO_PNS1_23onesweep_lookback_stateET6_jjj.has_indirect_call, 0
	.section	.AMDGPU.csdata,"",@progbits
; Kernel info:
; codeLenInByte = 27428
; TotalNumSgprs: 103
; NumVgprs: 100
; NumAgprs: 0
; TotalNumVgprs: 100
; ScratchSize: 0
; MemoryBound: 0
; FloatMode: 240
; IeeeMode: 1
; LDSByteSize: 38912 bytes/workgroup (compile time only)
; SGPRBlocks: 12
; VGPRBlocks: 12
; NumSGPRsForWavesPerEU: 103
; NumVGPRsForWavesPerEU: 100
; AccumOffset: 100
; Occupancy: 4
; WaveLimiterHint : 1
; COMPUTE_PGM_RSRC2:SCRATCH_EN: 0
; COMPUTE_PGM_RSRC2:USER_SGPR: 2
; COMPUTE_PGM_RSRC2:TRAP_HANDLER: 0
; COMPUTE_PGM_RSRC2:TGID_X_EN: 1
; COMPUTE_PGM_RSRC2:TGID_Y_EN: 0
; COMPUTE_PGM_RSRC2:TGID_Z_EN: 0
; COMPUTE_PGM_RSRC2:TIDIG_COMP_CNT: 2
; COMPUTE_PGM_RSRC3_GFX90A:ACCUM_OFFSET: 24
; COMPUTE_PGM_RSRC3_GFX90A:TG_SPLIT: 0
	.section	.text._ZN7rocprim17ROCPRIM_304000_NS6detail25onesweep_iteration_kernelINS1_34wrapped_radix_sort_onesweep_configINS0_14default_configEtN2at4cuda3cub6detail10OpaqueTypeILi8EEEEELb1EPtSC_PSA_SD_mNS0_19identity_decomposerEEEvT1_T2_T3_T4_jPT5_SK_PNS1_23onesweep_lookback_stateET6_jjj,"axG",@progbits,_ZN7rocprim17ROCPRIM_304000_NS6detail25onesweep_iteration_kernelINS1_34wrapped_radix_sort_onesweep_configINS0_14default_configEtN2at4cuda3cub6detail10OpaqueTypeILi8EEEEELb1EPtSC_PSA_SD_mNS0_19identity_decomposerEEEvT1_T2_T3_T4_jPT5_SK_PNS1_23onesweep_lookback_stateET6_jjj,comdat
	.protected	_ZN7rocprim17ROCPRIM_304000_NS6detail25onesweep_iteration_kernelINS1_34wrapped_radix_sort_onesweep_configINS0_14default_configEtN2at4cuda3cub6detail10OpaqueTypeILi8EEEEELb1EPtSC_PSA_SD_mNS0_19identity_decomposerEEEvT1_T2_T3_T4_jPT5_SK_PNS1_23onesweep_lookback_stateET6_jjj ; -- Begin function _ZN7rocprim17ROCPRIM_304000_NS6detail25onesweep_iteration_kernelINS1_34wrapped_radix_sort_onesweep_configINS0_14default_configEtN2at4cuda3cub6detail10OpaqueTypeILi8EEEEELb1EPtSC_PSA_SD_mNS0_19identity_decomposerEEEvT1_T2_T3_T4_jPT5_SK_PNS1_23onesweep_lookback_stateET6_jjj
	.globl	_ZN7rocprim17ROCPRIM_304000_NS6detail25onesweep_iteration_kernelINS1_34wrapped_radix_sort_onesweep_configINS0_14default_configEtN2at4cuda3cub6detail10OpaqueTypeILi8EEEEELb1EPtSC_PSA_SD_mNS0_19identity_decomposerEEEvT1_T2_T3_T4_jPT5_SK_PNS1_23onesweep_lookback_stateET6_jjj
	.p2align	8
	.type	_ZN7rocprim17ROCPRIM_304000_NS6detail25onesweep_iteration_kernelINS1_34wrapped_radix_sort_onesweep_configINS0_14default_configEtN2at4cuda3cub6detail10OpaqueTypeILi8EEEEELb1EPtSC_PSA_SD_mNS0_19identity_decomposerEEEvT1_T2_T3_T4_jPT5_SK_PNS1_23onesweep_lookback_stateET6_jjj,@function
_ZN7rocprim17ROCPRIM_304000_NS6detail25onesweep_iteration_kernelINS1_34wrapped_radix_sort_onesweep_configINS0_14default_configEtN2at4cuda3cub6detail10OpaqueTypeILi8EEEEELb1EPtSC_PSA_SD_mNS0_19identity_decomposerEEEvT1_T2_T3_T4_jPT5_SK_PNS1_23onesweep_lookback_stateET6_jjj: ; @_ZN7rocprim17ROCPRIM_304000_NS6detail25onesweep_iteration_kernelINS1_34wrapped_radix_sort_onesweep_configINS0_14default_configEtN2at4cuda3cub6detail10OpaqueTypeILi8EEEEELb1EPtSC_PSA_SD_mNS0_19identity_decomposerEEEvT1_T2_T3_T4_jPT5_SK_PNS1_23onesweep_lookback_stateET6_jjj
; %bb.0:
	s_load_dwordx8 s[76:83], s[0:1], 0x0
	s_load_dwordx4 s[88:91], s[0:1], 0x44
	s_load_dwordx4 s[84:87], s[0:1], 0x28
	s_load_dwordx2 s[94:95], s[0:1], 0x38
	s_mov_b32 s3, s2
	s_mov_b64 s[4:5], -1
	s_waitcnt lgkmcnt(0)
	s_cmp_ge_u32 s2, s90
	s_mul_i32 s92, s2, 0x1200
	v_mbcnt_lo_u32_b32 v1, -1, 0
	s_cbranch_scc0 .LBB15_218
; %bb.1:
	s_load_dword s6, s[0:1], 0x20
	s_mulk_i32 s90, 0xee00
	s_mov_b32 s93, 0
	s_lshl_b64 s[4:5], s[92:93], 1
	v_mbcnt_hi_u32_b32 v3, -1, v1
	s_waitcnt lgkmcnt(0)
	s_add_i32 s90, s90, s6
	s_add_u32 s4, s76, s4
	v_and_b32_e32 v19, 0xc0, v0
	s_addc_u32 s5, s77, s5
	v_mul_u32_u24_e32 v14, 18, v19
	v_mov_b32_e32 v5, 0
	v_lshlrev_b32_e32 v4, 1, v3
	v_lshl_add_u64 v[6:7], s[4:5], 0, v[4:5]
	v_lshlrev_b32_e32 v4, 1, v14
	v_lshl_add_u64 v[4:5], v[6:7], 0, v[4:5]
	v_or_b32_e32 v6, v3, v14
	v_cmp_gt_u32_e32 vcc, s90, v6
	v_mov_b32_e32 v8, -1
	v_mov_b32_e32 v9, -1
	s_and_saveexec_b64 s[4:5], vcc
	s_cbranch_execz .LBB15_3
; %bb.2:
	global_load_ushort v2, v[4:5], off
	s_waitcnt vmcnt(0)
	v_xor_b32_e32 v9, -1, v2
.LBB15_3:
	s_or_b64 exec, exec, s[4:5]
	v_add_u32_e32 v2, 64, v6
	v_cmp_gt_u32_e64 s[74:75], s90, v2
	s_and_saveexec_b64 s[4:5], s[74:75]
	s_cbranch_execz .LBB15_5
; %bb.4:
	global_load_ushort v2, v[4:5], off offset:128
	s_waitcnt vmcnt(0)
	v_xor_b32_e32 v8, -1, v2
.LBB15_5:
	s_or_b64 exec, exec, s[4:5]
	v_add_u32_e32 v2, 0x80, v6
	v_cmp_gt_u32_e64 s[4:5], s90, v2
	v_mov_b32_e32 v10, -1
	v_mov_b32_e32 v11, -1
	s_and_saveexec_b64 s[6:7], s[4:5]
	s_cbranch_execz .LBB15_7
; %bb.6:
	global_load_ushort v2, v[4:5], off offset:256
	s_waitcnt vmcnt(0)
	v_xor_b32_e32 v11, -1, v2
.LBB15_7:
	s_or_b64 exec, exec, s[6:7]
	v_add_u32_e32 v2, 0xc0, v6
	v_cmp_gt_u32_e64 s[10:11], s90, v2
	s_and_saveexec_b64 s[6:7], s[10:11]
	s_cbranch_execz .LBB15_9
; %bb.8:
	global_load_ushort v2, v[4:5], off offset:384
	s_waitcnt vmcnt(0)
	v_xor_b32_e32 v10, -1, v2
.LBB15_9:
	s_or_b64 exec, exec, s[6:7]
	v_add_u32_e32 v2, 0x100, v6
	v_cmp_gt_u32_e64 s[16:17], s90, v2
	v_mov_b32_e32 v12, -1
	v_mov_b32_e32 v13, -1
	s_and_saveexec_b64 s[6:7], s[16:17]
	s_cbranch_execz .LBB15_11
; %bb.10:
	global_load_ushort v2, v[4:5], off offset:512
	s_waitcnt vmcnt(0)
	v_xor_b32_e32 v13, -1, v2
.LBB15_11:
	;; [unrolled: 22-line block ×8, first 2 shown]
	s_or_b64 exec, exec, s[6:7]
	v_add_u32_e32 v6, 0x440, v6
	v_and_b32_e32 v2, 0x3ff, v0
	v_cmp_gt_u32_e64 s[6:7], s90, v6
	s_and_saveexec_b64 s[38:39], s[6:7]
	s_cbranch_execz .LBB15_37
; %bb.36:
	global_load_ushort v4, v[4:5], off offset:2176
	s_waitcnt vmcnt(0)
	v_xor_b32_e32 v26, -1, v4
.LBB15_37:
	s_or_b64 exec, exec, s[38:39]
	s_load_dword s38, s[0:1], 0x5c
	s_load_dword s33, s[0:1], 0x50
	s_add_u32 s39, s0, 0x50
	s_addc_u32 s40, s1, 0
	v_mov_b32_e32 v5, 0
	s_waitcnt lgkmcnt(0)
	s_lshr_b32 s41, s38, 16
	s_cmp_lt_u32 s2, s33
	s_cselect_b32 s38, 12, 18
	s_add_u32 s38, s39, s38
	s_addc_u32 s39, s40, 0
	global_load_ushort v29, v5, s[38:39]
	v_lshrrev_b32_sdwa v31, s88, v9 dst_sel:DWORD dst_unused:UNUSED_PAD src0_sel:DWORD src1_sel:WORD_0
	s_lshl_b32 s38, -1, s89
	v_bfe_u32 v4, v0, 10, 10
	v_bfe_u32 v7, v0, 20, 10
	v_bitop3_b32 v45, v31, s38, v31 bitop3:0x30
	v_mad_u32_u24 v44, v7, s41, v4
	v_and_b32_e32 v4, 1, v45
	v_lshlrev_b32_e32 v7, 30, v45
	v_mov_b32_e32 v6, v5
	v_mov_b32_e32 v32, v5
	s_not_b32 s96, s38
	v_lshlrev_b32_e32 v31, 29, v45
	v_lshlrev_b32_e32 v33, 28, v45
	v_lshl_add_u64 v[42:43], v[4:5], 0, -1
	v_cmp_ne_u32_e64 s[38:39], 0, v4
	v_not_b32_e32 v4, v7
	v_mov_b32_e32 v30, v5
	v_mov_b32_e32 v34, v5
	v_lshlrev_b32_e32 v35, 27, v45
	v_cmp_gt_i64_e64 s[40:41], 0, v[6:7]
	v_not_b32_e32 v6, v31
	v_cmp_gt_i64_e64 s[44:45], 0, v[32:33]
	v_not_b32_e32 v7, v33
	v_xor_b32_e32 v33, s39, v43
	v_ashrrev_i32_e32 v4, 31, v4
	v_mov_b32_e32 v36, v5
	v_lshlrev_b32_e32 v37, 26, v45
	v_cmp_gt_i64_e64 s[42:43], 0, v[30:31]
	v_cmp_gt_i64_e64 s[46:47], 0, v[34:35]
	v_not_b32_e32 v30, v35
	v_xor_b32_e32 v34, s38, v42
	v_ashrrev_i32_e32 v6, 31, v6
	v_and_b32_e32 v33, exec_hi, v33
	v_xor_b32_e32 v35, s41, v4
	v_cmp_gt_i64_e64 s[48:49], 0, v[36:37]
	v_ashrrev_i32_e32 v7, 31, v7
	v_and_b32_e32 v34, exec_lo, v34
	v_xor_b32_e32 v4, s40, v4
	v_xor_b32_e32 v36, s43, v6
	v_and_b32_e32 v33, v33, v35
	v_mov_b32_e32 v38, v5
	v_lshlrev_b32_e32 v39, 25, v45
	v_not_b32_e32 v31, v37
	v_ashrrev_i32_e32 v30, 31, v30
	v_xor_b32_e32 v6, s42, v6
	v_xor_b32_e32 v37, s45, v7
	v_and_b32_e32 v4, v34, v4
	v_and_b32_e32 v33, v33, v36
	v_cmp_gt_i64_e64 s[50:51], 0, v[38:39]
	v_not_b32_e32 v32, v39
	v_ashrrev_i32_e32 v31, 31, v31
	v_xor_b32_e32 v7, s44, v7
	v_xor_b32_e32 v38, s47, v30
	v_and_b32_e32 v4, v4, v6
	v_and_b32_e32 v6, v33, v37
	v_mov_b32_e32 v40, v5
	v_lshlrev_b32_e32 v41, 24, v45
	v_ashrrev_i32_e32 v32, 31, v32
	v_xor_b32_e32 v30, s46, v30
	v_xor_b32_e32 v39, s49, v31
	v_and_b32_e32 v4, v4, v7
	v_and_b32_e32 v6, v6, v38
	v_cmp_gt_i64_e64 s[52:53], 0, v[40:41]
	v_xor_b32_e32 v31, s48, v31
	v_xor_b32_e32 v40, s51, v32
	v_and_b32_e32 v4, v4, v30
	v_and_b32_e32 v6, v6, v39
	;; [unrolled: 1-line block ×4, first 2 shown]
	v_xor_b32_e32 v32, s50, v32
	v_and_b32_e32 v4, v4, v32
	v_mul_u32_u24_e32 v28, 20, v2
	ds_write2_b32 v28, v5, v5 offset0:4 offset1:5
	ds_write2_b32 v28, v5, v5 offset0:6 offset1:7
	ds_write_b32 v28, v5 offset:32
	s_waitcnt lgkmcnt(0)
	s_barrier
	s_waitcnt vmcnt(0)
	; wave barrier
	v_mad_u64_u32 v[6:7], s[38:39], v44, v29, v[2:3]
	v_lshrrev_b32_e32 v6, 6, v6
	v_lshlrev_b32_e32 v38, 2, v6
	v_not_b32_e32 v6, v41
	v_ashrrev_i32_e32 v6, 31, v6
	v_xor_b32_e32 v7, s53, v6
	v_xor_b32_e32 v6, s52, v6
	v_and_b32_e32 v6, v4, v6
	v_and_b32_e32 v7, v31, v7
	v_mbcnt_lo_u32_b32 v4, v6, 0
	v_mbcnt_hi_u32_b32 v29, v7, v4
	v_cmp_eq_u32_e64 s[38:39], 0, v29
	v_cmp_ne_u64_e64 s[40:41], 0, v[6:7]
	v_mad_u32_u24 v30, v45, 20, v38
	s_and_b64 s[40:41], s[40:41], s[38:39]
	s_and_saveexec_b64 s[38:39], s[40:41]
; %bb.38:
	v_bcnt_u32_b32 v4, v6, 0
	v_bcnt_u32_b32 v4, v7, v4
	ds_write_b32 v30, v4 offset:16
; %bb.39:
	s_or_b64 exec, exec, s[38:39]
	v_lshrrev_b32_sdwa v4, s88, v8 dst_sel:DWORD dst_unused:UNUSED_PAD src0_sel:DWORD src1_sel:WORD_0
	v_and_b32_e32 v33, s96, v4
	v_and_b32_e32 v4, 1, v33
	v_lshl_add_u64 v[6:7], v[4:5], 0, -1
	v_cmp_ne_u32_e64 s[38:39], 0, v4
	v_mad_u32_u24 v32, v33, 20, v38
	s_nop 0
	v_xor_b32_e32 v6, s38, v6
	v_xor_b32_e32 v4, s39, v7
	v_and_b32_e32 v34, exec_lo, v6
	v_lshlrev_b32_e32 v7, 30, v33
	v_mov_b32_e32 v6, v5
	v_cmp_gt_i64_e64 s[38:39], 0, v[6:7]
	v_not_b32_e32 v6, v7
	v_ashrrev_i32_e32 v6, 31, v6
	v_and_b32_e32 v4, exec_hi, v4
	v_xor_b32_e32 v7, s39, v6
	v_xor_b32_e32 v6, s38, v6
	v_and_b32_e32 v4, v4, v7
	v_and_b32_e32 v34, v34, v6
	v_lshlrev_b32_e32 v7, 29, v33
	v_mov_b32_e32 v6, v5
	v_cmp_gt_i64_e64 s[38:39], 0, v[6:7]
	v_not_b32_e32 v6, v7
	v_ashrrev_i32_e32 v6, 31, v6
	v_xor_b32_e32 v7, s39, v6
	v_xor_b32_e32 v6, s38, v6
	v_and_b32_e32 v4, v4, v7
	v_and_b32_e32 v34, v34, v6
	v_lshlrev_b32_e32 v7, 28, v33
	v_mov_b32_e32 v6, v5
	v_cmp_gt_i64_e64 s[38:39], 0, v[6:7]
	v_not_b32_e32 v6, v7
	v_ashrrev_i32_e32 v6, 31, v6
	v_xor_b32_e32 v7, s39, v6
	v_xor_b32_e32 v6, s38, v6
	v_and_b32_e32 v4, v4, v7
	v_and_b32_e32 v34, v34, v6
	v_lshlrev_b32_e32 v7, 27, v33
	v_mov_b32_e32 v6, v5
	v_cmp_gt_i64_e64 s[38:39], 0, v[6:7]
	v_not_b32_e32 v6, v7
	v_ashrrev_i32_e32 v6, 31, v6
	v_xor_b32_e32 v7, s39, v6
	v_xor_b32_e32 v6, s38, v6
	v_and_b32_e32 v4, v4, v7
	v_and_b32_e32 v34, v34, v6
	v_lshlrev_b32_e32 v7, 26, v33
	v_mov_b32_e32 v6, v5
	v_cmp_gt_i64_e64 s[38:39], 0, v[6:7]
	v_not_b32_e32 v6, v7
	v_ashrrev_i32_e32 v6, 31, v6
	v_xor_b32_e32 v7, s39, v6
	v_xor_b32_e32 v6, s38, v6
	v_and_b32_e32 v4, v4, v7
	v_and_b32_e32 v34, v34, v6
	v_lshlrev_b32_e32 v7, 25, v33
	v_mov_b32_e32 v6, v5
	v_cmp_gt_i64_e64 s[38:39], 0, v[6:7]
	v_not_b32_e32 v6, v7
	v_ashrrev_i32_e32 v6, 31, v6
	v_xor_b32_e32 v7, s39, v6
	v_xor_b32_e32 v6, s38, v6
	v_and_b32_e32 v4, v4, v7
	v_lshlrev_b32_e32 v7, 24, v33
	v_and_b32_e32 v34, v34, v6
	v_mov_b32_e32 v6, v5
	v_not_b32_e32 v5, v7
	v_cmp_gt_i64_e64 s[38:39], 0, v[6:7]
	v_ashrrev_i32_e32 v5, 31, v5
	; wave barrier
	s_nop 0
	v_xor_b32_e32 v6, s39, v5
	v_xor_b32_e32 v7, s38, v5
	ds_read_b32 v31, v32 offset:16
	v_and_b32_e32 v5, v4, v6
	v_and_b32_e32 v4, v34, v7
	v_mbcnt_lo_u32_b32 v6, v4, 0
	v_mbcnt_hi_u32_b32 v33, v5, v6
	v_cmp_eq_u32_e64 s[38:39], 0, v33
	v_cmp_ne_u64_e64 s[40:41], 0, v[4:5]
	s_and_b64 s[40:41], s[40:41], s[38:39]
	; wave barrier
	s_and_saveexec_b64 s[38:39], s[40:41]
	s_cbranch_execz .LBB15_41
; %bb.40:
	v_bcnt_u32_b32 v4, v4, 0
	v_bcnt_u32_b32 v4, v5, v4
	s_waitcnt lgkmcnt(0)
	v_add_u32_e32 v4, v31, v4
	ds_write_b32 v32, v4 offset:16
.LBB15_41:
	s_or_b64 exec, exec, s[38:39]
	v_lshrrev_b32_sdwa v4, s88, v11 dst_sel:DWORD dst_unused:UNUSED_PAD src0_sel:DWORD src1_sel:WORD_0
	v_and_b32_e32 v36, s96, v4
	v_and_b32_e32 v4, 1, v36
	v_mov_b32_e32 v5, 0
	v_lshl_add_u64 v[6:7], v[4:5], 0, -1
	v_cmp_ne_u32_e64 s[38:39], 0, v4
	v_mad_u32_u24 v35, v36, 20, v38
	s_nop 0
	v_xor_b32_e32 v6, s38, v6
	v_xor_b32_e32 v4, s39, v7
	v_and_b32_e32 v37, exec_lo, v6
	v_lshlrev_b32_e32 v7, 30, v36
	v_mov_b32_e32 v6, v5
	v_cmp_gt_i64_e64 s[38:39], 0, v[6:7]
	v_not_b32_e32 v6, v7
	v_ashrrev_i32_e32 v6, 31, v6
	v_and_b32_e32 v4, exec_hi, v4
	v_xor_b32_e32 v7, s39, v6
	v_xor_b32_e32 v6, s38, v6
	v_and_b32_e32 v4, v4, v7
	v_and_b32_e32 v37, v37, v6
	v_lshlrev_b32_e32 v7, 29, v36
	v_mov_b32_e32 v6, v5
	v_cmp_gt_i64_e64 s[38:39], 0, v[6:7]
	v_not_b32_e32 v6, v7
	v_ashrrev_i32_e32 v6, 31, v6
	v_xor_b32_e32 v7, s39, v6
	v_xor_b32_e32 v6, s38, v6
	v_and_b32_e32 v4, v4, v7
	v_and_b32_e32 v37, v37, v6
	v_lshlrev_b32_e32 v7, 28, v36
	v_mov_b32_e32 v6, v5
	v_cmp_gt_i64_e64 s[38:39], 0, v[6:7]
	v_not_b32_e32 v6, v7
	v_ashrrev_i32_e32 v6, 31, v6
	;; [unrolled: 9-line block ×6, first 2 shown]
	v_xor_b32_e32 v7, s39, v6
	v_xor_b32_e32 v6, s38, v6
	; wave barrier
	ds_read_b32 v34, v35 offset:16
	v_and_b32_e32 v6, v37, v6
	v_and_b32_e32 v7, v4, v7
	v_mbcnt_lo_u32_b32 v4, v6, 0
	v_mbcnt_hi_u32_b32 v36, v7, v4
	v_cmp_eq_u32_e64 s[38:39], 0, v36
	v_cmp_ne_u64_e64 s[40:41], 0, v[6:7]
	s_and_b64 s[40:41], s[40:41], s[38:39]
	; wave barrier
	s_and_saveexec_b64 s[38:39], s[40:41]
	s_cbranch_execz .LBB15_43
; %bb.42:
	v_bcnt_u32_b32 v4, v6, 0
	v_bcnt_u32_b32 v4, v7, v4
	s_waitcnt lgkmcnt(0)
	v_add_u32_e32 v4, v34, v4
	ds_write_b32 v35, v4 offset:16
.LBB15_43:
	s_or_b64 exec, exec, s[38:39]
	v_lshrrev_b32_sdwa v4, s88, v10 dst_sel:DWORD dst_unused:UNUSED_PAD src0_sel:DWORD src1_sel:WORD_0
	v_and_b32_e32 v40, s96, v4
	v_and_b32_e32 v4, 1, v40
	v_lshl_add_u64 v[6:7], v[4:5], 0, -1
	v_cmp_ne_u32_e64 s[38:39], 0, v4
	v_mad_u32_u24 v39, v40, 20, v38
	s_nop 0
	v_xor_b32_e32 v6, s38, v6
	v_xor_b32_e32 v4, s39, v7
	v_and_b32_e32 v41, exec_lo, v6
	v_lshlrev_b32_e32 v7, 30, v40
	v_mov_b32_e32 v6, v5
	v_cmp_gt_i64_e64 s[38:39], 0, v[6:7]
	v_not_b32_e32 v6, v7
	v_ashrrev_i32_e32 v6, 31, v6
	v_and_b32_e32 v4, exec_hi, v4
	v_xor_b32_e32 v7, s39, v6
	v_xor_b32_e32 v6, s38, v6
	v_and_b32_e32 v4, v4, v7
	v_and_b32_e32 v41, v41, v6
	v_lshlrev_b32_e32 v7, 29, v40
	v_mov_b32_e32 v6, v5
	v_cmp_gt_i64_e64 s[38:39], 0, v[6:7]
	v_not_b32_e32 v6, v7
	v_ashrrev_i32_e32 v6, 31, v6
	v_xor_b32_e32 v7, s39, v6
	v_xor_b32_e32 v6, s38, v6
	v_and_b32_e32 v4, v4, v7
	v_and_b32_e32 v41, v41, v6
	v_lshlrev_b32_e32 v7, 28, v40
	v_mov_b32_e32 v6, v5
	v_cmp_gt_i64_e64 s[38:39], 0, v[6:7]
	v_not_b32_e32 v6, v7
	v_ashrrev_i32_e32 v6, 31, v6
	;; [unrolled: 9-line block ×5, first 2 shown]
	v_xor_b32_e32 v7, s39, v6
	v_xor_b32_e32 v6, s38, v6
	v_and_b32_e32 v4, v4, v7
	v_lshlrev_b32_e32 v7, 24, v40
	v_and_b32_e32 v41, v41, v6
	v_mov_b32_e32 v6, v5
	v_not_b32_e32 v5, v7
	v_cmp_gt_i64_e64 s[38:39], 0, v[6:7]
	v_ashrrev_i32_e32 v5, 31, v5
	; wave barrier
	s_nop 0
	v_xor_b32_e32 v6, s39, v5
	v_xor_b32_e32 v7, s38, v5
	ds_read_b32 v37, v39 offset:16
	v_and_b32_e32 v5, v4, v6
	v_and_b32_e32 v4, v41, v7
	v_mbcnt_lo_u32_b32 v6, v4, 0
	v_mbcnt_hi_u32_b32 v40, v5, v6
	v_cmp_eq_u32_e64 s[38:39], 0, v40
	v_cmp_ne_u64_e64 s[40:41], 0, v[4:5]
	s_and_b64 s[40:41], s[40:41], s[38:39]
	; wave barrier
	s_and_saveexec_b64 s[38:39], s[40:41]
	s_cbranch_execz .LBB15_45
; %bb.44:
	v_bcnt_u32_b32 v4, v4, 0
	v_bcnt_u32_b32 v4, v5, v4
	s_waitcnt lgkmcnt(0)
	v_add_u32_e32 v4, v37, v4
	ds_write_b32 v39, v4 offset:16
.LBB15_45:
	s_or_b64 exec, exec, s[38:39]
	v_lshrrev_b32_sdwa v4, s88, v13 dst_sel:DWORD dst_unused:UNUSED_PAD src0_sel:DWORD src1_sel:WORD_0
	v_and_b32_e32 v43, s96, v4
	v_and_b32_e32 v4, 1, v43
	v_mov_b32_e32 v5, 0
	v_lshl_add_u64 v[6:7], v[4:5], 0, -1
	v_cmp_ne_u32_e64 s[38:39], 0, v4
	v_mad_u32_u24 v42, v43, 20, v38
	s_nop 0
	v_xor_b32_e32 v6, s38, v6
	v_xor_b32_e32 v4, s39, v7
	v_and_b32_e32 v44, exec_lo, v6
	v_lshlrev_b32_e32 v7, 30, v43
	v_mov_b32_e32 v6, v5
	v_cmp_gt_i64_e64 s[38:39], 0, v[6:7]
	v_not_b32_e32 v6, v7
	v_ashrrev_i32_e32 v6, 31, v6
	v_and_b32_e32 v4, exec_hi, v4
	v_xor_b32_e32 v7, s39, v6
	v_xor_b32_e32 v6, s38, v6
	v_and_b32_e32 v4, v4, v7
	v_and_b32_e32 v44, v44, v6
	v_lshlrev_b32_e32 v7, 29, v43
	v_mov_b32_e32 v6, v5
	v_cmp_gt_i64_e64 s[38:39], 0, v[6:7]
	v_not_b32_e32 v6, v7
	v_ashrrev_i32_e32 v6, 31, v6
	v_xor_b32_e32 v7, s39, v6
	v_xor_b32_e32 v6, s38, v6
	v_and_b32_e32 v4, v4, v7
	v_and_b32_e32 v44, v44, v6
	v_lshlrev_b32_e32 v7, 28, v43
	v_mov_b32_e32 v6, v5
	v_cmp_gt_i64_e64 s[38:39], 0, v[6:7]
	v_not_b32_e32 v6, v7
	v_ashrrev_i32_e32 v6, 31, v6
	;; [unrolled: 9-line block ×6, first 2 shown]
	v_xor_b32_e32 v7, s39, v6
	v_xor_b32_e32 v6, s38, v6
	; wave barrier
	ds_read_b32 v41, v42 offset:16
	v_and_b32_e32 v6, v44, v6
	v_and_b32_e32 v7, v4, v7
	v_mbcnt_lo_u32_b32 v4, v6, 0
	v_mbcnt_hi_u32_b32 v43, v7, v4
	v_cmp_eq_u32_e64 s[38:39], 0, v43
	v_cmp_ne_u64_e64 s[40:41], 0, v[6:7]
	s_and_b64 s[40:41], s[40:41], s[38:39]
	; wave barrier
	s_and_saveexec_b64 s[38:39], s[40:41]
	s_cbranch_execz .LBB15_47
; %bb.46:
	v_bcnt_u32_b32 v4, v6, 0
	v_bcnt_u32_b32 v4, v7, v4
	s_waitcnt lgkmcnt(0)
	v_add_u32_e32 v4, v41, v4
	ds_write_b32 v42, v4 offset:16
.LBB15_47:
	s_or_b64 exec, exec, s[38:39]
	v_lshrrev_b32_sdwa v4, s88, v12 dst_sel:DWORD dst_unused:UNUSED_PAD src0_sel:DWORD src1_sel:WORD_0
	v_and_b32_e32 v46, s96, v4
	v_and_b32_e32 v4, 1, v46
	v_lshl_add_u64 v[6:7], v[4:5], 0, -1
	v_cmp_ne_u32_e64 s[38:39], 0, v4
	v_mad_u32_u24 v45, v46, 20, v38
	s_nop 0
	v_xor_b32_e32 v6, s38, v6
	v_xor_b32_e32 v4, s39, v7
	v_and_b32_e32 v47, exec_lo, v6
	v_lshlrev_b32_e32 v7, 30, v46
	v_mov_b32_e32 v6, v5
	v_cmp_gt_i64_e64 s[38:39], 0, v[6:7]
	v_not_b32_e32 v6, v7
	v_ashrrev_i32_e32 v6, 31, v6
	v_and_b32_e32 v4, exec_hi, v4
	v_xor_b32_e32 v7, s39, v6
	v_xor_b32_e32 v6, s38, v6
	v_and_b32_e32 v4, v4, v7
	v_and_b32_e32 v47, v47, v6
	v_lshlrev_b32_e32 v7, 29, v46
	v_mov_b32_e32 v6, v5
	v_cmp_gt_i64_e64 s[38:39], 0, v[6:7]
	v_not_b32_e32 v6, v7
	v_ashrrev_i32_e32 v6, 31, v6
	v_xor_b32_e32 v7, s39, v6
	v_xor_b32_e32 v6, s38, v6
	v_and_b32_e32 v4, v4, v7
	v_and_b32_e32 v47, v47, v6
	v_lshlrev_b32_e32 v7, 28, v46
	v_mov_b32_e32 v6, v5
	v_cmp_gt_i64_e64 s[38:39], 0, v[6:7]
	v_not_b32_e32 v6, v7
	v_ashrrev_i32_e32 v6, 31, v6
	v_xor_b32_e32 v7, s39, v6
	v_xor_b32_e32 v6, s38, v6
	v_and_b32_e32 v4, v4, v7
	v_and_b32_e32 v47, v47, v6
	v_lshlrev_b32_e32 v7, 27, v46
	v_mov_b32_e32 v6, v5
	v_cmp_gt_i64_e64 s[38:39], 0, v[6:7]
	v_not_b32_e32 v6, v7
	v_ashrrev_i32_e32 v6, 31, v6
	v_xor_b32_e32 v7, s39, v6
	v_xor_b32_e32 v6, s38, v6
	v_and_b32_e32 v4, v4, v7
	v_and_b32_e32 v47, v47, v6
	v_lshlrev_b32_e32 v7, 26, v46
	v_mov_b32_e32 v6, v5
	v_cmp_gt_i64_e64 s[38:39], 0, v[6:7]
	v_not_b32_e32 v6, v7
	v_ashrrev_i32_e32 v6, 31, v6
	v_xor_b32_e32 v7, s39, v6
	v_xor_b32_e32 v6, s38, v6
	v_and_b32_e32 v4, v4, v7
	v_and_b32_e32 v47, v47, v6
	v_lshlrev_b32_e32 v7, 25, v46
	v_mov_b32_e32 v6, v5
	v_cmp_gt_i64_e64 s[38:39], 0, v[6:7]
	v_not_b32_e32 v6, v7
	v_ashrrev_i32_e32 v6, 31, v6
	v_xor_b32_e32 v7, s39, v6
	v_xor_b32_e32 v6, s38, v6
	v_and_b32_e32 v4, v4, v7
	v_lshlrev_b32_e32 v7, 24, v46
	v_and_b32_e32 v47, v47, v6
	v_mov_b32_e32 v6, v5
	v_not_b32_e32 v5, v7
	v_cmp_gt_i64_e64 s[38:39], 0, v[6:7]
	v_ashrrev_i32_e32 v5, 31, v5
	; wave barrier
	s_nop 0
	v_xor_b32_e32 v6, s39, v5
	v_xor_b32_e32 v7, s38, v5
	ds_read_b32 v44, v45 offset:16
	v_and_b32_e32 v5, v4, v6
	v_and_b32_e32 v4, v47, v7
	v_mbcnt_lo_u32_b32 v6, v4, 0
	v_mbcnt_hi_u32_b32 v46, v5, v6
	v_cmp_eq_u32_e64 s[38:39], 0, v46
	v_cmp_ne_u64_e64 s[40:41], 0, v[4:5]
	s_and_b64 s[40:41], s[40:41], s[38:39]
	; wave barrier
	s_and_saveexec_b64 s[38:39], s[40:41]
	s_cbranch_execz .LBB15_49
; %bb.48:
	v_bcnt_u32_b32 v4, v4, 0
	v_bcnt_u32_b32 v4, v5, v4
	s_waitcnt lgkmcnt(0)
	v_add_u32_e32 v4, v44, v4
	ds_write_b32 v45, v4 offset:16
.LBB15_49:
	s_or_b64 exec, exec, s[38:39]
	v_lshrrev_b32_sdwa v4, s88, v16 dst_sel:DWORD dst_unused:UNUSED_PAD src0_sel:DWORD src1_sel:WORD_0
	v_and_b32_e32 v49, s96, v4
	v_and_b32_e32 v4, 1, v49
	v_mov_b32_e32 v5, 0
	v_lshl_add_u64 v[6:7], v[4:5], 0, -1
	v_cmp_ne_u32_e64 s[38:39], 0, v4
	v_mad_u32_u24 v48, v49, 20, v38
	s_nop 0
	v_xor_b32_e32 v6, s38, v6
	v_xor_b32_e32 v4, s39, v7
	v_and_b32_e32 v50, exec_lo, v6
	v_lshlrev_b32_e32 v7, 30, v49
	v_mov_b32_e32 v6, v5
	v_cmp_gt_i64_e64 s[38:39], 0, v[6:7]
	v_not_b32_e32 v6, v7
	v_ashrrev_i32_e32 v6, 31, v6
	v_and_b32_e32 v4, exec_hi, v4
	v_xor_b32_e32 v7, s39, v6
	v_xor_b32_e32 v6, s38, v6
	v_and_b32_e32 v4, v4, v7
	v_and_b32_e32 v50, v50, v6
	v_lshlrev_b32_e32 v7, 29, v49
	v_mov_b32_e32 v6, v5
	v_cmp_gt_i64_e64 s[38:39], 0, v[6:7]
	v_not_b32_e32 v6, v7
	v_ashrrev_i32_e32 v6, 31, v6
	v_xor_b32_e32 v7, s39, v6
	v_xor_b32_e32 v6, s38, v6
	v_and_b32_e32 v4, v4, v7
	v_and_b32_e32 v50, v50, v6
	v_lshlrev_b32_e32 v7, 28, v49
	v_mov_b32_e32 v6, v5
	v_cmp_gt_i64_e64 s[38:39], 0, v[6:7]
	v_not_b32_e32 v6, v7
	v_ashrrev_i32_e32 v6, 31, v6
	;; [unrolled: 9-line block ×6, first 2 shown]
	v_xor_b32_e32 v7, s39, v6
	v_xor_b32_e32 v6, s38, v6
	; wave barrier
	ds_read_b32 v47, v48 offset:16
	v_and_b32_e32 v6, v50, v6
	v_and_b32_e32 v7, v4, v7
	v_mbcnt_lo_u32_b32 v4, v6, 0
	v_mbcnt_hi_u32_b32 v49, v7, v4
	v_cmp_eq_u32_e64 s[38:39], 0, v49
	v_cmp_ne_u64_e64 s[40:41], 0, v[6:7]
	s_and_b64 s[40:41], s[40:41], s[38:39]
	; wave barrier
	s_and_saveexec_b64 s[38:39], s[40:41]
	s_cbranch_execz .LBB15_51
; %bb.50:
	v_bcnt_u32_b32 v4, v6, 0
	v_bcnt_u32_b32 v4, v7, v4
	s_waitcnt lgkmcnt(0)
	v_add_u32_e32 v4, v47, v4
	ds_write_b32 v48, v4 offset:16
.LBB15_51:
	s_or_b64 exec, exec, s[38:39]
	v_lshrrev_b32_sdwa v4, s88, v15 dst_sel:DWORD dst_unused:UNUSED_PAD src0_sel:DWORD src1_sel:WORD_0
	v_and_b32_e32 v52, s96, v4
	v_and_b32_e32 v4, 1, v52
	v_lshl_add_u64 v[6:7], v[4:5], 0, -1
	v_cmp_ne_u32_e64 s[38:39], 0, v4
	v_mad_u32_u24 v51, v52, 20, v38
	s_nop 0
	v_xor_b32_e32 v6, s38, v6
	v_xor_b32_e32 v4, s39, v7
	v_and_b32_e32 v53, exec_lo, v6
	v_lshlrev_b32_e32 v7, 30, v52
	v_mov_b32_e32 v6, v5
	v_cmp_gt_i64_e64 s[38:39], 0, v[6:7]
	v_not_b32_e32 v6, v7
	v_ashrrev_i32_e32 v6, 31, v6
	v_and_b32_e32 v4, exec_hi, v4
	v_xor_b32_e32 v7, s39, v6
	v_xor_b32_e32 v6, s38, v6
	v_and_b32_e32 v4, v4, v7
	v_and_b32_e32 v53, v53, v6
	v_lshlrev_b32_e32 v7, 29, v52
	v_mov_b32_e32 v6, v5
	v_cmp_gt_i64_e64 s[38:39], 0, v[6:7]
	v_not_b32_e32 v6, v7
	v_ashrrev_i32_e32 v6, 31, v6
	v_xor_b32_e32 v7, s39, v6
	v_xor_b32_e32 v6, s38, v6
	v_and_b32_e32 v4, v4, v7
	v_and_b32_e32 v53, v53, v6
	v_lshlrev_b32_e32 v7, 28, v52
	v_mov_b32_e32 v6, v5
	v_cmp_gt_i64_e64 s[38:39], 0, v[6:7]
	v_not_b32_e32 v6, v7
	v_ashrrev_i32_e32 v6, 31, v6
	;; [unrolled: 9-line block ×5, first 2 shown]
	v_xor_b32_e32 v7, s39, v6
	v_xor_b32_e32 v6, s38, v6
	v_and_b32_e32 v4, v4, v7
	v_lshlrev_b32_e32 v7, 24, v52
	v_and_b32_e32 v53, v53, v6
	v_mov_b32_e32 v6, v5
	v_not_b32_e32 v5, v7
	v_cmp_gt_i64_e64 s[38:39], 0, v[6:7]
	v_ashrrev_i32_e32 v5, 31, v5
	; wave barrier
	s_nop 0
	v_xor_b32_e32 v6, s39, v5
	v_xor_b32_e32 v7, s38, v5
	ds_read_b32 v50, v51 offset:16
	v_and_b32_e32 v5, v4, v6
	v_and_b32_e32 v4, v53, v7
	v_mbcnt_lo_u32_b32 v6, v4, 0
	v_mbcnt_hi_u32_b32 v52, v5, v6
	v_cmp_eq_u32_e64 s[38:39], 0, v52
	v_cmp_ne_u64_e64 s[40:41], 0, v[4:5]
	s_and_b64 s[40:41], s[40:41], s[38:39]
	; wave barrier
	s_and_saveexec_b64 s[38:39], s[40:41]
	s_cbranch_execz .LBB15_53
; %bb.52:
	v_bcnt_u32_b32 v4, v4, 0
	v_bcnt_u32_b32 v4, v5, v4
	s_waitcnt lgkmcnt(0)
	v_add_u32_e32 v4, v50, v4
	ds_write_b32 v51, v4 offset:16
.LBB15_53:
	s_or_b64 exec, exec, s[38:39]
	v_lshrrev_b32_sdwa v4, s88, v18 dst_sel:DWORD dst_unused:UNUSED_PAD src0_sel:DWORD src1_sel:WORD_0
	v_and_b32_e32 v55, s96, v4
	v_and_b32_e32 v4, 1, v55
	v_mov_b32_e32 v5, 0
	v_lshl_add_u64 v[6:7], v[4:5], 0, -1
	v_cmp_ne_u32_e64 s[38:39], 0, v4
	v_mad_u32_u24 v54, v55, 20, v38
	s_nop 0
	v_xor_b32_e32 v6, s38, v6
	v_xor_b32_e32 v4, s39, v7
	v_and_b32_e32 v56, exec_lo, v6
	v_lshlrev_b32_e32 v7, 30, v55
	v_mov_b32_e32 v6, v5
	v_cmp_gt_i64_e64 s[38:39], 0, v[6:7]
	v_not_b32_e32 v6, v7
	v_ashrrev_i32_e32 v6, 31, v6
	v_and_b32_e32 v4, exec_hi, v4
	v_xor_b32_e32 v7, s39, v6
	v_xor_b32_e32 v6, s38, v6
	v_and_b32_e32 v4, v4, v7
	v_and_b32_e32 v56, v56, v6
	v_lshlrev_b32_e32 v7, 29, v55
	v_mov_b32_e32 v6, v5
	v_cmp_gt_i64_e64 s[38:39], 0, v[6:7]
	v_not_b32_e32 v6, v7
	v_ashrrev_i32_e32 v6, 31, v6
	v_xor_b32_e32 v7, s39, v6
	v_xor_b32_e32 v6, s38, v6
	v_and_b32_e32 v4, v4, v7
	v_and_b32_e32 v56, v56, v6
	v_lshlrev_b32_e32 v7, 28, v55
	v_mov_b32_e32 v6, v5
	v_cmp_gt_i64_e64 s[38:39], 0, v[6:7]
	v_not_b32_e32 v6, v7
	v_ashrrev_i32_e32 v6, 31, v6
	;; [unrolled: 9-line block ×6, first 2 shown]
	v_xor_b32_e32 v7, s39, v6
	v_xor_b32_e32 v6, s38, v6
	; wave barrier
	ds_read_b32 v53, v54 offset:16
	v_and_b32_e32 v6, v56, v6
	v_and_b32_e32 v7, v4, v7
	v_mbcnt_lo_u32_b32 v4, v6, 0
	v_mbcnt_hi_u32_b32 v55, v7, v4
	v_cmp_eq_u32_e64 s[38:39], 0, v55
	v_cmp_ne_u64_e64 s[40:41], 0, v[6:7]
	s_and_b64 s[40:41], s[40:41], s[38:39]
	; wave barrier
	s_and_saveexec_b64 s[38:39], s[40:41]
	s_cbranch_execz .LBB15_55
; %bb.54:
	v_bcnt_u32_b32 v4, v6, 0
	v_bcnt_u32_b32 v4, v7, v4
	s_waitcnt lgkmcnt(0)
	v_add_u32_e32 v4, v53, v4
	ds_write_b32 v54, v4 offset:16
.LBB15_55:
	s_or_b64 exec, exec, s[38:39]
	v_lshrrev_b32_sdwa v4, s88, v17 dst_sel:DWORD dst_unused:UNUSED_PAD src0_sel:DWORD src1_sel:WORD_0
	v_and_b32_e32 v58, s96, v4
	v_and_b32_e32 v4, 1, v58
	v_lshl_add_u64 v[6:7], v[4:5], 0, -1
	v_cmp_ne_u32_e64 s[38:39], 0, v4
	v_mad_u32_u24 v57, v58, 20, v38
	s_nop 0
	v_xor_b32_e32 v6, s38, v6
	v_xor_b32_e32 v4, s39, v7
	v_and_b32_e32 v59, exec_lo, v6
	v_lshlrev_b32_e32 v7, 30, v58
	v_mov_b32_e32 v6, v5
	v_cmp_gt_i64_e64 s[38:39], 0, v[6:7]
	v_not_b32_e32 v6, v7
	v_ashrrev_i32_e32 v6, 31, v6
	v_and_b32_e32 v4, exec_hi, v4
	v_xor_b32_e32 v7, s39, v6
	v_xor_b32_e32 v6, s38, v6
	v_and_b32_e32 v4, v4, v7
	v_and_b32_e32 v59, v59, v6
	v_lshlrev_b32_e32 v7, 29, v58
	v_mov_b32_e32 v6, v5
	v_cmp_gt_i64_e64 s[38:39], 0, v[6:7]
	v_not_b32_e32 v6, v7
	v_ashrrev_i32_e32 v6, 31, v6
	v_xor_b32_e32 v7, s39, v6
	v_xor_b32_e32 v6, s38, v6
	v_and_b32_e32 v4, v4, v7
	v_and_b32_e32 v59, v59, v6
	v_lshlrev_b32_e32 v7, 28, v58
	v_mov_b32_e32 v6, v5
	v_cmp_gt_i64_e64 s[38:39], 0, v[6:7]
	v_not_b32_e32 v6, v7
	v_ashrrev_i32_e32 v6, 31, v6
	;; [unrolled: 9-line block ×5, first 2 shown]
	v_xor_b32_e32 v7, s39, v6
	v_xor_b32_e32 v6, s38, v6
	v_and_b32_e32 v4, v4, v7
	v_lshlrev_b32_e32 v7, 24, v58
	v_and_b32_e32 v59, v59, v6
	v_mov_b32_e32 v6, v5
	v_not_b32_e32 v5, v7
	v_cmp_gt_i64_e64 s[38:39], 0, v[6:7]
	v_ashrrev_i32_e32 v5, 31, v5
	; wave barrier
	s_nop 0
	v_xor_b32_e32 v6, s39, v5
	v_xor_b32_e32 v7, s38, v5
	ds_read_b32 v56, v57 offset:16
	v_and_b32_e32 v5, v4, v6
	v_and_b32_e32 v4, v59, v7
	v_mbcnt_lo_u32_b32 v6, v4, 0
	v_mbcnt_hi_u32_b32 v58, v5, v6
	v_cmp_eq_u32_e64 s[38:39], 0, v58
	v_cmp_ne_u64_e64 s[40:41], 0, v[4:5]
	s_and_b64 s[40:41], s[40:41], s[38:39]
	; wave barrier
	s_and_saveexec_b64 s[38:39], s[40:41]
	s_cbranch_execz .LBB15_57
; %bb.56:
	v_bcnt_u32_b32 v4, v4, 0
	v_bcnt_u32_b32 v4, v5, v4
	s_waitcnt lgkmcnt(0)
	v_add_u32_e32 v4, v56, v4
	ds_write_b32 v57, v4 offset:16
.LBB15_57:
	s_or_b64 exec, exec, s[38:39]
	v_lshrrev_b32_sdwa v4, s88, v21 dst_sel:DWORD dst_unused:UNUSED_PAD src0_sel:DWORD src1_sel:WORD_0
	v_and_b32_e32 v61, s96, v4
	v_and_b32_e32 v4, 1, v61
	v_mov_b32_e32 v5, 0
	v_lshl_add_u64 v[6:7], v[4:5], 0, -1
	v_cmp_ne_u32_e64 s[38:39], 0, v4
	v_mad_u32_u24 v60, v61, 20, v38
	s_nop 0
	v_xor_b32_e32 v6, s38, v6
	v_xor_b32_e32 v4, s39, v7
	v_and_b32_e32 v62, exec_lo, v6
	v_lshlrev_b32_e32 v7, 30, v61
	v_mov_b32_e32 v6, v5
	v_cmp_gt_i64_e64 s[38:39], 0, v[6:7]
	v_not_b32_e32 v6, v7
	v_ashrrev_i32_e32 v6, 31, v6
	v_and_b32_e32 v4, exec_hi, v4
	v_xor_b32_e32 v7, s39, v6
	v_xor_b32_e32 v6, s38, v6
	v_and_b32_e32 v4, v4, v7
	v_and_b32_e32 v62, v62, v6
	v_lshlrev_b32_e32 v7, 29, v61
	v_mov_b32_e32 v6, v5
	v_cmp_gt_i64_e64 s[38:39], 0, v[6:7]
	v_not_b32_e32 v6, v7
	v_ashrrev_i32_e32 v6, 31, v6
	v_xor_b32_e32 v7, s39, v6
	v_xor_b32_e32 v6, s38, v6
	v_and_b32_e32 v4, v4, v7
	v_and_b32_e32 v62, v62, v6
	v_lshlrev_b32_e32 v7, 28, v61
	v_mov_b32_e32 v6, v5
	v_cmp_gt_i64_e64 s[38:39], 0, v[6:7]
	v_not_b32_e32 v6, v7
	v_ashrrev_i32_e32 v6, 31, v6
	;; [unrolled: 9-line block ×6, first 2 shown]
	v_xor_b32_e32 v7, s39, v6
	v_xor_b32_e32 v6, s38, v6
	; wave barrier
	ds_read_b32 v59, v60 offset:16
	v_and_b32_e32 v6, v62, v6
	v_and_b32_e32 v7, v4, v7
	v_mbcnt_lo_u32_b32 v4, v6, 0
	v_mbcnt_hi_u32_b32 v61, v7, v4
	v_cmp_eq_u32_e64 s[38:39], 0, v61
	v_cmp_ne_u64_e64 s[40:41], 0, v[6:7]
	s_and_b64 s[40:41], s[40:41], s[38:39]
	; wave barrier
	s_and_saveexec_b64 s[38:39], s[40:41]
	s_cbranch_execz .LBB15_59
; %bb.58:
	v_bcnt_u32_b32 v4, v6, 0
	v_bcnt_u32_b32 v4, v7, v4
	s_waitcnt lgkmcnt(0)
	v_add_u32_e32 v4, v59, v4
	ds_write_b32 v60, v4 offset:16
.LBB15_59:
	s_or_b64 exec, exec, s[38:39]
	v_lshrrev_b32_sdwa v4, s88, v20 dst_sel:DWORD dst_unused:UNUSED_PAD src0_sel:DWORD src1_sel:WORD_0
	v_and_b32_e32 v64, s96, v4
	v_and_b32_e32 v4, 1, v64
	v_lshl_add_u64 v[6:7], v[4:5], 0, -1
	v_cmp_ne_u32_e64 s[38:39], 0, v4
	v_mad_u32_u24 v63, v64, 20, v38
	s_nop 0
	v_xor_b32_e32 v6, s38, v6
	v_xor_b32_e32 v4, s39, v7
	v_and_b32_e32 v65, exec_lo, v6
	v_lshlrev_b32_e32 v7, 30, v64
	v_mov_b32_e32 v6, v5
	v_cmp_gt_i64_e64 s[38:39], 0, v[6:7]
	v_not_b32_e32 v6, v7
	v_ashrrev_i32_e32 v6, 31, v6
	v_and_b32_e32 v4, exec_hi, v4
	v_xor_b32_e32 v7, s39, v6
	v_xor_b32_e32 v6, s38, v6
	v_and_b32_e32 v4, v4, v7
	v_and_b32_e32 v65, v65, v6
	v_lshlrev_b32_e32 v7, 29, v64
	v_mov_b32_e32 v6, v5
	v_cmp_gt_i64_e64 s[38:39], 0, v[6:7]
	v_not_b32_e32 v6, v7
	v_ashrrev_i32_e32 v6, 31, v6
	v_xor_b32_e32 v7, s39, v6
	v_xor_b32_e32 v6, s38, v6
	v_and_b32_e32 v4, v4, v7
	v_and_b32_e32 v65, v65, v6
	v_lshlrev_b32_e32 v7, 28, v64
	v_mov_b32_e32 v6, v5
	v_cmp_gt_i64_e64 s[38:39], 0, v[6:7]
	v_not_b32_e32 v6, v7
	v_ashrrev_i32_e32 v6, 31, v6
	;; [unrolled: 9-line block ×5, first 2 shown]
	v_xor_b32_e32 v7, s39, v6
	v_xor_b32_e32 v6, s38, v6
	v_and_b32_e32 v4, v4, v7
	v_lshlrev_b32_e32 v7, 24, v64
	v_and_b32_e32 v65, v65, v6
	v_mov_b32_e32 v6, v5
	v_not_b32_e32 v5, v7
	v_cmp_gt_i64_e64 s[38:39], 0, v[6:7]
	v_ashrrev_i32_e32 v5, 31, v5
	; wave barrier
	s_nop 0
	v_xor_b32_e32 v6, s39, v5
	v_xor_b32_e32 v7, s38, v5
	ds_read_b32 v62, v63 offset:16
	v_and_b32_e32 v5, v4, v6
	v_and_b32_e32 v4, v65, v7
	v_mbcnt_lo_u32_b32 v6, v4, 0
	v_mbcnt_hi_u32_b32 v64, v5, v6
	v_cmp_eq_u32_e64 s[38:39], 0, v64
	v_cmp_ne_u64_e64 s[40:41], 0, v[4:5]
	s_and_b64 s[40:41], s[40:41], s[38:39]
	; wave barrier
	s_and_saveexec_b64 s[38:39], s[40:41]
	s_cbranch_execz .LBB15_61
; %bb.60:
	v_bcnt_u32_b32 v4, v4, 0
	v_bcnt_u32_b32 v4, v5, v4
	s_waitcnt lgkmcnt(0)
	v_add_u32_e32 v4, v62, v4
	ds_write_b32 v63, v4 offset:16
.LBB15_61:
	s_or_b64 exec, exec, s[38:39]
	v_lshrrev_b32_sdwa v4, s88, v23 dst_sel:DWORD dst_unused:UNUSED_PAD src0_sel:DWORD src1_sel:WORD_0
	v_and_b32_e32 v67, s96, v4
	v_and_b32_e32 v4, 1, v67
	v_mov_b32_e32 v5, 0
	v_lshl_add_u64 v[6:7], v[4:5], 0, -1
	v_cmp_ne_u32_e64 s[38:39], 0, v4
	v_mad_u32_u24 v66, v67, 20, v38
	s_nop 0
	v_xor_b32_e32 v6, s38, v6
	v_xor_b32_e32 v4, s39, v7
	v_and_b32_e32 v68, exec_lo, v6
	v_lshlrev_b32_e32 v7, 30, v67
	v_mov_b32_e32 v6, v5
	v_cmp_gt_i64_e64 s[38:39], 0, v[6:7]
	v_not_b32_e32 v6, v7
	v_ashrrev_i32_e32 v6, 31, v6
	v_and_b32_e32 v4, exec_hi, v4
	v_xor_b32_e32 v7, s39, v6
	v_xor_b32_e32 v6, s38, v6
	v_and_b32_e32 v4, v4, v7
	v_and_b32_e32 v68, v68, v6
	v_lshlrev_b32_e32 v7, 29, v67
	v_mov_b32_e32 v6, v5
	v_cmp_gt_i64_e64 s[38:39], 0, v[6:7]
	v_not_b32_e32 v6, v7
	v_ashrrev_i32_e32 v6, 31, v6
	v_xor_b32_e32 v7, s39, v6
	v_xor_b32_e32 v6, s38, v6
	v_and_b32_e32 v4, v4, v7
	v_and_b32_e32 v68, v68, v6
	v_lshlrev_b32_e32 v7, 28, v67
	v_mov_b32_e32 v6, v5
	v_cmp_gt_i64_e64 s[38:39], 0, v[6:7]
	v_not_b32_e32 v6, v7
	v_ashrrev_i32_e32 v6, 31, v6
	;; [unrolled: 9-line block ×6, first 2 shown]
	v_xor_b32_e32 v7, s39, v6
	v_xor_b32_e32 v6, s38, v6
	; wave barrier
	ds_read_b32 v65, v66 offset:16
	v_and_b32_e32 v6, v68, v6
	v_and_b32_e32 v7, v4, v7
	v_mbcnt_lo_u32_b32 v4, v6, 0
	v_mbcnt_hi_u32_b32 v67, v7, v4
	v_cmp_eq_u32_e64 s[38:39], 0, v67
	v_cmp_ne_u64_e64 s[40:41], 0, v[6:7]
	s_and_b64 s[40:41], s[40:41], s[38:39]
	; wave barrier
	s_and_saveexec_b64 s[38:39], s[40:41]
	s_cbranch_execz .LBB15_63
; %bb.62:
	v_bcnt_u32_b32 v4, v6, 0
	v_bcnt_u32_b32 v4, v7, v4
	s_waitcnt lgkmcnt(0)
	v_add_u32_e32 v4, v65, v4
	ds_write_b32 v66, v4 offset:16
.LBB15_63:
	s_or_b64 exec, exec, s[38:39]
	v_lshrrev_b32_sdwa v4, s88, v22 dst_sel:DWORD dst_unused:UNUSED_PAD src0_sel:DWORD src1_sel:WORD_0
	v_and_b32_e32 v70, s96, v4
	v_and_b32_e32 v4, 1, v70
	v_lshl_add_u64 v[6:7], v[4:5], 0, -1
	v_cmp_ne_u32_e64 s[38:39], 0, v4
	v_mad_u32_u24 v69, v70, 20, v38
	s_nop 0
	v_xor_b32_e32 v6, s38, v6
	v_xor_b32_e32 v4, s39, v7
	v_and_b32_e32 v71, exec_lo, v6
	v_lshlrev_b32_e32 v7, 30, v70
	v_mov_b32_e32 v6, v5
	v_cmp_gt_i64_e64 s[38:39], 0, v[6:7]
	v_not_b32_e32 v6, v7
	v_ashrrev_i32_e32 v6, 31, v6
	v_and_b32_e32 v4, exec_hi, v4
	v_xor_b32_e32 v7, s39, v6
	v_xor_b32_e32 v6, s38, v6
	v_and_b32_e32 v4, v4, v7
	v_and_b32_e32 v71, v71, v6
	v_lshlrev_b32_e32 v7, 29, v70
	v_mov_b32_e32 v6, v5
	v_cmp_gt_i64_e64 s[38:39], 0, v[6:7]
	v_not_b32_e32 v6, v7
	v_ashrrev_i32_e32 v6, 31, v6
	v_xor_b32_e32 v7, s39, v6
	v_xor_b32_e32 v6, s38, v6
	v_and_b32_e32 v4, v4, v7
	v_and_b32_e32 v71, v71, v6
	v_lshlrev_b32_e32 v7, 28, v70
	v_mov_b32_e32 v6, v5
	v_cmp_gt_i64_e64 s[38:39], 0, v[6:7]
	v_not_b32_e32 v6, v7
	v_ashrrev_i32_e32 v6, 31, v6
	;; [unrolled: 9-line block ×5, first 2 shown]
	v_xor_b32_e32 v7, s39, v6
	v_xor_b32_e32 v6, s38, v6
	v_and_b32_e32 v4, v4, v7
	v_lshlrev_b32_e32 v7, 24, v70
	v_and_b32_e32 v71, v71, v6
	v_mov_b32_e32 v6, v5
	v_not_b32_e32 v5, v7
	v_cmp_gt_i64_e64 s[38:39], 0, v[6:7]
	v_ashrrev_i32_e32 v5, 31, v5
	; wave barrier
	s_nop 0
	v_xor_b32_e32 v6, s39, v5
	v_xor_b32_e32 v7, s38, v5
	ds_read_b32 v68, v69 offset:16
	v_and_b32_e32 v5, v4, v6
	v_and_b32_e32 v4, v71, v7
	v_mbcnt_lo_u32_b32 v6, v4, 0
	v_mbcnt_hi_u32_b32 v70, v5, v6
	v_cmp_eq_u32_e64 s[38:39], 0, v70
	v_cmp_ne_u64_e64 s[40:41], 0, v[4:5]
	s_and_b64 s[40:41], s[40:41], s[38:39]
	; wave barrier
	s_and_saveexec_b64 s[38:39], s[40:41]
	s_cbranch_execz .LBB15_65
; %bb.64:
	v_bcnt_u32_b32 v4, v4, 0
	v_bcnt_u32_b32 v4, v5, v4
	s_waitcnt lgkmcnt(0)
	v_add_u32_e32 v4, v68, v4
	ds_write_b32 v69, v4 offset:16
.LBB15_65:
	s_or_b64 exec, exec, s[38:39]
	v_lshrrev_b32_sdwa v4, s88, v25 dst_sel:DWORD dst_unused:UNUSED_PAD src0_sel:DWORD src1_sel:WORD_0
	v_and_b32_e32 v73, s96, v4
	v_and_b32_e32 v4, 1, v73
	v_mov_b32_e32 v5, 0
	v_lshl_add_u64 v[6:7], v[4:5], 0, -1
	v_cmp_ne_u32_e64 s[38:39], 0, v4
	v_mad_u32_u24 v72, v73, 20, v38
	s_nop 0
	v_xor_b32_e32 v6, s38, v6
	v_xor_b32_e32 v4, s39, v7
	v_and_b32_e32 v74, exec_lo, v6
	v_lshlrev_b32_e32 v7, 30, v73
	v_mov_b32_e32 v6, v5
	v_cmp_gt_i64_e64 s[38:39], 0, v[6:7]
	v_not_b32_e32 v6, v7
	v_ashrrev_i32_e32 v6, 31, v6
	v_and_b32_e32 v4, exec_hi, v4
	v_xor_b32_e32 v7, s39, v6
	v_xor_b32_e32 v6, s38, v6
	v_and_b32_e32 v4, v4, v7
	v_and_b32_e32 v74, v74, v6
	v_lshlrev_b32_e32 v7, 29, v73
	v_mov_b32_e32 v6, v5
	v_cmp_gt_i64_e64 s[38:39], 0, v[6:7]
	v_not_b32_e32 v6, v7
	v_ashrrev_i32_e32 v6, 31, v6
	v_xor_b32_e32 v7, s39, v6
	v_xor_b32_e32 v6, s38, v6
	v_and_b32_e32 v4, v4, v7
	v_and_b32_e32 v74, v74, v6
	v_lshlrev_b32_e32 v7, 28, v73
	v_mov_b32_e32 v6, v5
	v_cmp_gt_i64_e64 s[38:39], 0, v[6:7]
	v_not_b32_e32 v6, v7
	v_ashrrev_i32_e32 v6, 31, v6
	;; [unrolled: 9-line block ×6, first 2 shown]
	v_xor_b32_e32 v7, s39, v6
	v_xor_b32_e32 v6, s38, v6
	; wave barrier
	ds_read_b32 v71, v72 offset:16
	v_and_b32_e32 v6, v74, v6
	v_and_b32_e32 v7, v4, v7
	v_mbcnt_lo_u32_b32 v4, v6, 0
	v_mbcnt_hi_u32_b32 v73, v7, v4
	v_cmp_eq_u32_e64 s[38:39], 0, v73
	v_cmp_ne_u64_e64 s[40:41], 0, v[6:7]
	s_and_b64 s[40:41], s[40:41], s[38:39]
	; wave barrier
	s_and_saveexec_b64 s[38:39], s[40:41]
	s_cbranch_execz .LBB15_67
; %bb.66:
	v_bcnt_u32_b32 v4, v6, 0
	v_bcnt_u32_b32 v4, v7, v4
	s_waitcnt lgkmcnt(0)
	v_add_u32_e32 v4, v71, v4
	ds_write_b32 v72, v4 offset:16
.LBB15_67:
	s_or_b64 exec, exec, s[38:39]
	v_lshrrev_b32_sdwa v4, s88, v24 dst_sel:DWORD dst_unused:UNUSED_PAD src0_sel:DWORD src1_sel:WORD_0
	v_and_b32_e32 v76, s96, v4
	v_and_b32_e32 v4, 1, v76
	v_lshl_add_u64 v[6:7], v[4:5], 0, -1
	v_cmp_ne_u32_e64 s[38:39], 0, v4
	v_mad_u32_u24 v75, v76, 20, v38
	s_nop 0
	v_xor_b32_e32 v6, s38, v6
	v_xor_b32_e32 v4, s39, v7
	v_and_b32_e32 v77, exec_lo, v6
	v_lshlrev_b32_e32 v7, 30, v76
	v_mov_b32_e32 v6, v5
	v_cmp_gt_i64_e64 s[38:39], 0, v[6:7]
	v_not_b32_e32 v6, v7
	v_ashrrev_i32_e32 v6, 31, v6
	v_and_b32_e32 v4, exec_hi, v4
	v_xor_b32_e32 v7, s39, v6
	v_xor_b32_e32 v6, s38, v6
	v_and_b32_e32 v4, v4, v7
	v_and_b32_e32 v77, v77, v6
	v_lshlrev_b32_e32 v7, 29, v76
	v_mov_b32_e32 v6, v5
	v_cmp_gt_i64_e64 s[38:39], 0, v[6:7]
	v_not_b32_e32 v6, v7
	v_ashrrev_i32_e32 v6, 31, v6
	v_xor_b32_e32 v7, s39, v6
	v_xor_b32_e32 v6, s38, v6
	v_and_b32_e32 v4, v4, v7
	v_and_b32_e32 v77, v77, v6
	v_lshlrev_b32_e32 v7, 28, v76
	v_mov_b32_e32 v6, v5
	v_cmp_gt_i64_e64 s[38:39], 0, v[6:7]
	v_not_b32_e32 v6, v7
	v_ashrrev_i32_e32 v6, 31, v6
	;; [unrolled: 9-line block ×5, first 2 shown]
	v_xor_b32_e32 v7, s39, v6
	v_xor_b32_e32 v6, s38, v6
	v_and_b32_e32 v4, v4, v7
	v_lshlrev_b32_e32 v7, 24, v76
	v_and_b32_e32 v77, v77, v6
	v_mov_b32_e32 v6, v5
	v_not_b32_e32 v5, v7
	v_cmp_gt_i64_e64 s[38:39], 0, v[6:7]
	v_ashrrev_i32_e32 v5, 31, v5
	; wave barrier
	s_nop 0
	v_xor_b32_e32 v6, s39, v5
	v_xor_b32_e32 v7, s38, v5
	ds_read_b32 v74, v75 offset:16
	v_and_b32_e32 v5, v4, v6
	v_and_b32_e32 v4, v77, v7
	v_mbcnt_lo_u32_b32 v6, v4, 0
	v_mbcnt_hi_u32_b32 v76, v5, v6
	v_cmp_eq_u32_e64 s[38:39], 0, v76
	v_cmp_ne_u64_e64 s[40:41], 0, v[4:5]
	s_and_b64 s[40:41], s[40:41], s[38:39]
	; wave barrier
	s_and_saveexec_b64 s[38:39], s[40:41]
	s_cbranch_execz .LBB15_69
; %bb.68:
	v_bcnt_u32_b32 v4, v4, 0
	v_bcnt_u32_b32 v4, v5, v4
	s_waitcnt lgkmcnt(0)
	v_add_u32_e32 v4, v74, v4
	ds_write_b32 v75, v4 offset:16
.LBB15_69:
	s_or_b64 exec, exec, s[38:39]
	v_lshrrev_b32_sdwa v4, s88, v27 dst_sel:DWORD dst_unused:UNUSED_PAD src0_sel:DWORD src1_sel:WORD_0
	v_and_b32_e32 v79, s96, v4
	v_and_b32_e32 v4, 1, v79
	v_mov_b32_e32 v5, 0
	v_lshl_add_u64 v[6:7], v[4:5], 0, -1
	v_cmp_ne_u32_e64 s[38:39], 0, v4
	v_mad_u32_u24 v78, v79, 20, v38
	s_nop 0
	v_xor_b32_e32 v6, s38, v6
	v_xor_b32_e32 v4, s39, v7
	v_and_b32_e32 v80, exec_lo, v6
	v_lshlrev_b32_e32 v7, 30, v79
	v_mov_b32_e32 v6, v5
	v_cmp_gt_i64_e64 s[38:39], 0, v[6:7]
	v_not_b32_e32 v6, v7
	v_ashrrev_i32_e32 v6, 31, v6
	v_and_b32_e32 v4, exec_hi, v4
	v_xor_b32_e32 v7, s39, v6
	v_xor_b32_e32 v6, s38, v6
	v_and_b32_e32 v4, v4, v7
	v_and_b32_e32 v80, v80, v6
	v_lshlrev_b32_e32 v7, 29, v79
	v_mov_b32_e32 v6, v5
	v_cmp_gt_i64_e64 s[38:39], 0, v[6:7]
	v_not_b32_e32 v6, v7
	v_ashrrev_i32_e32 v6, 31, v6
	v_xor_b32_e32 v7, s39, v6
	v_xor_b32_e32 v6, s38, v6
	v_and_b32_e32 v4, v4, v7
	v_and_b32_e32 v80, v80, v6
	v_lshlrev_b32_e32 v7, 28, v79
	v_mov_b32_e32 v6, v5
	v_cmp_gt_i64_e64 s[38:39], 0, v[6:7]
	v_not_b32_e32 v6, v7
	v_ashrrev_i32_e32 v6, 31, v6
	;; [unrolled: 9-line block ×6, first 2 shown]
	v_xor_b32_e32 v7, s39, v6
	v_xor_b32_e32 v6, s38, v6
	; wave barrier
	ds_read_b32 v77, v78 offset:16
	v_and_b32_e32 v6, v80, v6
	v_and_b32_e32 v7, v4, v7
	v_mbcnt_lo_u32_b32 v4, v6, 0
	v_mbcnt_hi_u32_b32 v79, v7, v4
	v_cmp_eq_u32_e64 s[38:39], 0, v79
	v_cmp_ne_u64_e64 s[40:41], 0, v[6:7]
	s_and_b64 s[40:41], s[40:41], s[38:39]
	; wave barrier
	s_and_saveexec_b64 s[38:39], s[40:41]
	s_cbranch_execz .LBB15_71
; %bb.70:
	v_bcnt_u32_b32 v4, v6, 0
	v_bcnt_u32_b32 v4, v7, v4
	s_waitcnt lgkmcnt(0)
	v_add_u32_e32 v4, v77, v4
	ds_write_b32 v78, v4 offset:16
.LBB15_71:
	s_or_b64 exec, exec, s[38:39]
	v_lshrrev_b32_sdwa v4, s88, v26 dst_sel:DWORD dst_unused:UNUSED_PAD src0_sel:DWORD src1_sel:WORD_0
	v_and_b32_e32 v81, s96, v4
	v_and_b32_e32 v4, 1, v81
	v_lshl_add_u64 v[6:7], v[4:5], 0, -1
	v_cmp_ne_u32_e64 s[38:39], 0, v4
	v_mad_u32_u24 v38, v81, 20, v38
	s_nop 0
	v_xor_b32_e32 v6, s38, v6
	v_xor_b32_e32 v4, s39, v7
	v_and_b32_e32 v82, exec_lo, v6
	v_lshlrev_b32_e32 v7, 30, v81
	v_mov_b32_e32 v6, v5
	v_cmp_gt_i64_e64 s[38:39], 0, v[6:7]
	v_not_b32_e32 v6, v7
	v_ashrrev_i32_e32 v6, 31, v6
	v_and_b32_e32 v4, exec_hi, v4
	v_xor_b32_e32 v7, s39, v6
	v_xor_b32_e32 v6, s38, v6
	v_and_b32_e32 v4, v4, v7
	v_and_b32_e32 v82, v82, v6
	v_lshlrev_b32_e32 v7, 29, v81
	v_mov_b32_e32 v6, v5
	v_cmp_gt_i64_e64 s[38:39], 0, v[6:7]
	v_not_b32_e32 v6, v7
	v_ashrrev_i32_e32 v6, 31, v6
	v_xor_b32_e32 v7, s39, v6
	v_xor_b32_e32 v6, s38, v6
	v_and_b32_e32 v4, v4, v7
	v_and_b32_e32 v82, v82, v6
	v_lshlrev_b32_e32 v7, 28, v81
	v_mov_b32_e32 v6, v5
	v_cmp_gt_i64_e64 s[38:39], 0, v[6:7]
	v_not_b32_e32 v6, v7
	v_ashrrev_i32_e32 v6, 31, v6
	v_xor_b32_e32 v7, s39, v6
	v_xor_b32_e32 v6, s38, v6
	v_and_b32_e32 v4, v4, v7
	v_and_b32_e32 v82, v82, v6
	v_lshlrev_b32_e32 v7, 27, v81
	v_mov_b32_e32 v6, v5
	v_cmp_gt_i64_e64 s[38:39], 0, v[6:7]
	v_not_b32_e32 v6, v7
	v_ashrrev_i32_e32 v6, 31, v6
	v_xor_b32_e32 v7, s39, v6
	v_xor_b32_e32 v6, s38, v6
	v_and_b32_e32 v4, v4, v7
	v_and_b32_e32 v82, v82, v6
	v_lshlrev_b32_e32 v7, 26, v81
	v_mov_b32_e32 v6, v5
	v_cmp_gt_i64_e64 s[38:39], 0, v[6:7]
	v_not_b32_e32 v6, v7
	v_ashrrev_i32_e32 v6, 31, v6
	v_xor_b32_e32 v7, s39, v6
	v_xor_b32_e32 v6, s38, v6
	v_and_b32_e32 v4, v4, v7
	v_and_b32_e32 v82, v82, v6
	v_lshlrev_b32_e32 v7, 25, v81
	v_mov_b32_e32 v6, v5
	v_cmp_gt_i64_e64 s[38:39], 0, v[6:7]
	v_not_b32_e32 v6, v7
	v_ashrrev_i32_e32 v6, 31, v6
	v_xor_b32_e32 v7, s39, v6
	v_xor_b32_e32 v6, s38, v6
	v_and_b32_e32 v4, v4, v7
	v_lshlrev_b32_e32 v7, 24, v81
	v_and_b32_e32 v82, v82, v6
	v_mov_b32_e32 v6, v5
	v_not_b32_e32 v5, v7
	v_cmp_gt_i64_e64 s[38:39], 0, v[6:7]
	v_ashrrev_i32_e32 v5, 31, v5
	; wave barrier
	s_nop 0
	v_xor_b32_e32 v6, s39, v5
	v_xor_b32_e32 v7, s38, v5
	ds_read_b32 v80, v38 offset:16
	v_and_b32_e32 v5, v4, v6
	v_and_b32_e32 v4, v82, v7
	v_mbcnt_lo_u32_b32 v6, v4, 0
	v_mbcnt_hi_u32_b32 v81, v5, v6
	v_cmp_eq_u32_e64 s[38:39], 0, v81
	v_cmp_ne_u64_e64 s[40:41], 0, v[4:5]
	s_and_b64 s[40:41], s[40:41], s[38:39]
	; wave barrier
	s_and_saveexec_b64 s[38:39], s[40:41]
	s_cbranch_execz .LBB15_73
; %bb.72:
	v_bcnt_u32_b32 v4, v4, 0
	v_bcnt_u32_b32 v4, v5, v4
	s_waitcnt lgkmcnt(0)
	v_add_u32_e32 v4, v80, v4
	ds_write_b32 v38, v4 offset:16
.LBB15_73:
	s_or_b64 exec, exec, s[38:39]
	; wave barrier
	s_waitcnt lgkmcnt(0)
	s_barrier
	ds_read2_b32 v[6:7], v28 offset0:4 offset1:5
	ds_read2_b32 v[4:5], v28 offset0:6 offset1:7
	ds_read_b32 v82, v28 offset:32
	v_min_u32_e32 v19, 0xc0, v19
	v_or_b32_e32 v19, 63, v19
	s_waitcnt lgkmcnt(1)
	v_add3_u32 v83, v7, v6, v4
	s_waitcnt lgkmcnt(0)
	v_add3_u32 v82, v83, v5, v82
	v_and_b32_e32 v83, 15, v3
	v_cmp_ne_u32_e64 s[38:39], 0, v83
	v_mov_b32_dpp v84, v82 row_shr:1 row_mask:0xf bank_mask:0xf
	s_nop 0
	v_cndmask_b32_e64 v84, 0, v84, s[38:39]
	v_add_u32_e32 v82, v84, v82
	v_cmp_lt_u32_e64 s[38:39], 1, v83
	s_nop 0
	v_mov_b32_dpp v84, v82 row_shr:2 row_mask:0xf bank_mask:0xf
	v_cndmask_b32_e64 v84, 0, v84, s[38:39]
	v_add_u32_e32 v82, v82, v84
	v_cmp_lt_u32_e64 s[38:39], 3, v83
	s_nop 0
	v_mov_b32_dpp v84, v82 row_shr:4 row_mask:0xf bank_mask:0xf
	;; [unrolled: 5-line block ×3, first 2 shown]
	v_cndmask_b32_e64 v83, 0, v84, s[38:39]
	v_add_u32_e32 v82, v82, v83
	v_bfe_i32 v84, v3, 4, 1
	v_cmp_lt_u32_e64 s[38:39], 31, v3
	v_mov_b32_dpp v83, v82 row_bcast:15 row_mask:0xf bank_mask:0xf
	v_and_b32_e32 v83, v84, v83
	v_add_u32_e32 v82, v82, v83
	s_nop 1
	v_mov_b32_dpp v83, v82 row_bcast:31 row_mask:0xf bank_mask:0xf
	v_cndmask_b32_e64 v83, 0, v83, s[38:39]
	v_add_u32_e32 v82, v82, v83
	v_lshrrev_b32_e32 v83, 6, v2
	v_cmp_eq_u32_e64 s[38:39], v2, v19
	s_and_saveexec_b64 s[40:41], s[38:39]
; %bb.74:
	v_lshlrev_b32_e32 v19, 2, v83
	ds_write_b32 v19, v82
; %bb.75:
	s_or_b64 exec, exec, s[40:41]
	v_cmp_gt_u32_e64 s[38:39], 4, v2
	s_waitcnt lgkmcnt(0)
	s_barrier
	s_and_saveexec_b64 s[40:41], s[38:39]
	s_cbranch_execz .LBB15_77
; %bb.76:
	v_lshlrev_b32_e32 v19, 2, v2
	ds_read_b32 v84, v19
	v_and_b32_e32 v85, 3, v3
	v_cmp_ne_u32_e64 s[38:39], 0, v85
	s_waitcnt lgkmcnt(0)
	v_mov_b32_dpp v86, v84 row_shr:1 row_mask:0xf bank_mask:0xf
	v_cndmask_b32_e64 v86, 0, v86, s[38:39]
	v_add_u32_e32 v84, v86, v84
	v_cmp_lt_u32_e64 s[38:39], 1, v85
	s_nop 0
	v_mov_b32_dpp v86, v84 row_shr:2 row_mask:0xf bank_mask:0xf
	v_cndmask_b32_e64 v85, 0, v86, s[38:39]
	v_add_u32_e32 v84, v84, v85
	ds_write_b32 v19, v84
.LBB15_77:
	s_or_b64 exec, exec, s[40:41]
	v_cmp_lt_u32_e64 s[38:39], 63, v2
	v_mov_b32_e32 v19, 0
	s_waitcnt lgkmcnt(0)
	s_barrier
	s_and_saveexec_b64 s[40:41], s[38:39]
; %bb.78:
	v_lshl_add_u32 v19, v83, 2, -4
	ds_read_b32 v19, v19
; %bb.79:
	s_or_b64 exec, exec, s[40:41]
	v_add_u32_e32 v83, -1, v3
	v_and_b32_e32 v84, 64, v3
	v_cmp_lt_i32_e64 s[38:39], v83, v84
	s_waitcnt lgkmcnt(0)
	v_add_u32_e32 v82, v19, v82
	v_cndmask_b32_e64 v83, v83, v3, s[38:39]
	v_lshlrev_b32_e32 v83, 2, v83
	ds_bpermute_b32 v82, v83, v82
	v_cmp_eq_u32_e64 s[38:39], 0, v3
	s_waitcnt lgkmcnt(0)
	s_nop 0
	v_cndmask_b32_e64 v19, v82, v19, s[38:39]
	v_cmp_ne_u32_e64 s[38:39], 0, v2
	s_nop 1
	v_cndmask_b32_e64 v19, 0, v19, s[38:39]
	v_add_u32_e32 v6, v19, v6
	v_add_u32_e32 v7, v6, v7
	;; [unrolled: 1-line block ×4, first 2 shown]
	ds_write2_b32 v28, v19, v6 offset0:4 offset1:5
	ds_write2_b32 v28, v7, v4 offset0:6 offset1:7
	ds_write_b32 v28, v5 offset:32
	s_waitcnt lgkmcnt(0)
	s_barrier
	ds_read_b32 v6, v51 offset:16
	ds_read_b32 v7, v54 offset:16
	;; [unrolled: 1-line block ×19, first 2 shown]
	v_add_u32_e32 v28, 1, v2
	s_movk_i32 s38, 0x100
	v_cmp_ne_u32_e64 s[38:39], s38, v28
	v_mov_b32_e32 v5, 0x1200
	s_and_saveexec_b64 s[40:41], s[38:39]
; %bb.80:
	v_mul_u32_u24_e32 v5, 20, v28
	ds_read_b32 v5, v5 offset:16
; %bb.81:
	s_or_b64 exec, exec, s[40:41]
	s_waitcnt lgkmcnt(7)
	v_add_u32_e32 v48, v30, v29
	s_waitcnt lgkmcnt(6)
	v_add3_u32 v45, v33, v31, v32
	s_waitcnt lgkmcnt(5)
	v_add3_u32 v42, v36, v34, v35
	v_add3_u32 v36, v52, v50, v6
	v_lshlrev_b32_e32 v6, 1, v48
	s_waitcnt lgkmcnt(0)
	s_barrier
	ds_write_b16 v6, v9 offset:2048
	v_lshlrev_b32_e32 v6, 1, v45
	v_add3_u32 v40, v40, v37, v38
	ds_write_b16 v6, v8 offset:2048
	v_lshlrev_b32_e32 v6, 1, v42
	v_add3_u32 v39, v43, v41, v39
	;; [unrolled: 3-line block ×4, first 2 shown]
	ds_write_b16 v6, v13 offset:2048
	v_lshlrev_b32_e32 v6, 1, v38
	ds_write_b16 v6, v12 offset:2048
	v_lshlrev_b32_e32 v6, 1, v37
	v_add3_u32 v35, v55, v53, v7
	ds_write_b16 v6, v16 offset:2048
	v_lshlrev_b32_e32 v6, 1, v36
	v_add3_u32 v34, v58, v56, v19
	;; [unrolled: 3-line block ×10, first 2 shown]
	ds_write_b16 v6, v24 offset:2048
	v_lshlrev_b32_e32 v6, 1, v19
	ds_write_b16 v6, v27 offset:2048
	v_lshlrev_b32_e32 v6, 1, v7
	ds_write_b16 v6, v26 offset:2048
	v_sub_u32_e32 v6, v5, v4
	v_lshl_add_u32 v8, s2, 8, v2
	v_mov_b32_e32 v9, 0
	v_lshl_add_u64 v[10:11], v[8:9], 2, s[94:95]
	v_or_b32_e32 v5, 2.0, v6
	s_mov_b64 s[40:41], 0
	s_brev_b32 s46, -4
	s_mov_b32 s47, s3
	v_mov_b32_e32 v15, 0
	s_waitcnt lgkmcnt(0)
	s_barrier
	global_store_dword v[10:11], v5, off sc1
                                        ; implicit-def: $sgpr38_sgpr39
	s_branch .LBB15_84
.LBB15_82:                              ;   in Loop: Header=BB15_84 Depth=1
	s_or_b64 exec, exec, s[44:45]
.LBB15_83:                              ;   in Loop: Header=BB15_84 Depth=1
	s_or_b64 exec, exec, s[42:43]
	v_and_b32_e32 v8, 0x3fffffff, v5
	v_add_u32_e32 v15, v8, v15
	v_cmp_gt_i32_e64 s[38:39], -2.0, v5
	s_and_b64 s[42:43], exec, s[38:39]
	s_or_b64 s[40:41], s[42:43], s[40:41]
	s_andn2_b64 exec, exec, s[40:41]
	s_cbranch_execz .LBB15_89
.LBB15_84:                              ; =>This Loop Header: Depth=1
                                        ;     Child Loop BB15_87 Depth 2
	s_or_b64 s[38:39], s[38:39], exec
	s_cmp_eq_u32 s47, 0
	s_cbranch_scc1 .LBB15_88
; %bb.85:                               ;   in Loop: Header=BB15_84 Depth=1
	s_add_i32 s47, s47, -1
	v_lshl_add_u32 v8, s47, 8, v2
	v_lshl_add_u64 v[12:13], v[8:9], 2, s[94:95]
	global_load_dword v5, v[12:13], off sc1
	s_waitcnt vmcnt(0)
	v_cmp_gt_u32_e64 s[38:39], 2.0, v5
	s_and_saveexec_b64 s[42:43], s[38:39]
	s_cbranch_execz .LBB15_83
; %bb.86:                               ;   in Loop: Header=BB15_84 Depth=1
	s_mov_b64 s[44:45], 0
.LBB15_87:                              ;   Parent Loop BB15_84 Depth=1
                                        ; =>  This Inner Loop Header: Depth=2
	global_load_dword v5, v[12:13], off sc1
	s_waitcnt vmcnt(0)
	v_cmp_lt_u32_e64 s[38:39], s46, v5
	s_or_b64 s[44:45], s[38:39], s[44:45]
	s_andn2_b64 exec, exec, s[44:45]
	s_cbranch_execnz .LBB15_87
	s_branch .LBB15_82
.LBB15_88:                              ;   in Loop: Header=BB15_84 Depth=1
                                        ; implicit-def: $sgpr47
	s_and_b64 s[42:43], exec, s[38:39]
	s_or_b64 s[40:41], s[42:43], s[40:41]
	s_andn2_b64 exec, exec, s[40:41]
	s_cbranch_execnz .LBB15_84
.LBB15_89:
	s_or_b64 exec, exec, s[40:41]
	v_add_u32_e32 v5, v15, v6
	v_or_b32_e32 v5, 0x80000000, v5
	v_lshlrev_b32_e32 v8, 3, v2
	global_store_dword v[10:11], v5, off sc1
	global_load_dwordx2 v[10:11], v8, s[84:85]
	v_sub_co_u32_e64 v12, s[38:39], v15, v4
	v_mov_b32_e32 v5, 0
	s_nop 0
	v_subb_co_u32_e64 v13, s[38:39], 0, 0, s[38:39]
	v_cmp_gt_u32_e64 s[38:39], s90, v2
	s_waitcnt vmcnt(0)
	v_lshl_add_u64 v[10:11], v[12:13], 0, v[10:11]
	ds_write_b64 v8, v[10:11]
	s_waitcnt lgkmcnt(0)
	s_barrier
	s_and_saveexec_b64 s[40:41], s[38:39]
	s_cbranch_execz .LBB15_91
; %bb.90:
	v_mad_i32_i24 v9, v2, -6, v8
	ds_read_u16 v9, v9 offset:2048
	v_lshlrev_b32_e32 v12, 1, v2
	v_mov_b32_e32 v13, v5
	s_waitcnt lgkmcnt(0)
	v_lshrrev_b32_sdwa v10, s88, v9 dst_sel:DWORD dst_unused:UNUSED_PAD src0_sel:DWORD src1_sel:WORD_0
	v_and_b32_e32 v10, s96, v10
	v_lshlrev_b32_e32 v10, 3, v10
	ds_read_b64 v[10:11], v10
	v_xor_b32_e32 v9, -1, v9
	s_waitcnt lgkmcnt(0)
	v_lshl_add_u64 v[10:11], v[10:11], 1, s[78:79]
	v_lshl_add_u64 v[10:11], v[10:11], 0, v[12:13]
	global_store_short v[10:11], v9, off
.LBB15_91:
	s_or_b64 exec, exec, s[40:41]
	v_add_u32_e32 v9, 0x100, v2
	v_cmp_gt_u32_e64 s[40:41], s90, v9
	s_and_saveexec_b64 s[42:43], s[40:41]
	s_cbranch_execz .LBB15_93
; %bb.92:
	v_mad_i32_i24 v9, v2, -6, v8
	ds_read_u16 v9, v9 offset:2560
	v_lshlrev_b32_e32 v12, 1, v2
	v_mov_b32_e32 v13, 0
	s_waitcnt lgkmcnt(0)
	v_lshrrev_b32_sdwa v10, s88, v9 dst_sel:DWORD dst_unused:UNUSED_PAD src0_sel:DWORD src1_sel:WORD_0
	v_and_b32_e32 v10, s96, v10
	v_lshlrev_b32_e32 v10, 3, v10
	ds_read_b64 v[10:11], v10
	v_xor_b32_e32 v9, -1, v9
	s_waitcnt lgkmcnt(0)
	v_lshl_add_u64 v[10:11], v[10:11], 1, s[78:79]
	v_lshl_add_u64 v[10:11], v[10:11], 0, v[12:13]
	global_store_short v[10:11], v9, off offset:512
.LBB15_93:
	s_or_b64 exec, exec, s[42:43]
	v_add_u32_e32 v12, 0x200, v2
	v_cmp_gt_u32_e64 s[42:43], s90, v12
	s_and_saveexec_b64 s[44:45], s[42:43]
	s_cbranch_execz .LBB15_95
; %bb.94:
	v_mad_i32_i24 v9, v2, -6, v8
	ds_read_u16 v9, v9 offset:3072
	v_lshlrev_b32_e32 v16, 1, v2
	v_mov_b32_e32 v17, 0
	s_waitcnt lgkmcnt(0)
	v_lshrrev_b32_sdwa v10, s88, v9 dst_sel:DWORD dst_unused:UNUSED_PAD src0_sel:DWORD src1_sel:WORD_0
	v_and_b32_e32 v10, s96, v10
	v_lshlrev_b32_e32 v10, 3, v10
	ds_read_b64 v[10:11], v10
	v_xor_b32_e32 v9, -1, v9
	s_waitcnt lgkmcnt(0)
	v_lshl_add_u64 v[10:11], v[10:11], 1, s[78:79]
	v_lshl_add_u64 v[10:11], v[10:11], 0, v[16:17]
	global_store_short v[10:11], v9, off offset:1024
.LBB15_95:
	;; [unrolled: 21-line block ×3, first 2 shown]
	s_or_b64 exec, exec, s[46:47]
	v_or_b32_e32 v15, 0x400, v2
	v_cmp_gt_u32_e64 s[46:47], s90, v15
	s_and_saveexec_b64 s[48:49], s[46:47]
	s_cbranch_execz .LBB15_99
; %bb.98:
	v_mad_i32_i24 v9, v2, -6, v8
	ds_read_u16 v9, v9 offset:4096
	v_lshlrev_b32_e32 v16, 1, v2
	v_mov_b32_e32 v17, 0
	s_waitcnt lgkmcnt(0)
	v_lshrrev_b32_sdwa v10, s88, v9 dst_sel:DWORD dst_unused:UNUSED_PAD src0_sel:DWORD src1_sel:WORD_0
	v_and_b32_e32 v10, s96, v10
	v_lshlrev_b32_e32 v10, 3, v10
	ds_read_b64 v[10:11], v10
	v_xor_b32_e32 v9, -1, v9
	s_waitcnt lgkmcnt(0)
	v_lshl_add_u64 v[10:11], v[10:11], 1, s[78:79]
	v_lshl_add_u64 v[10:11], v[10:11], 0, v[16:17]
	global_store_short v[10:11], v9, off offset:2048
.LBB15_99:
	s_or_b64 exec, exec, s[48:49]
	v_add_u32_e32 v16, 0x500, v2
	v_cmp_gt_u32_e64 s[48:49], s90, v16
	s_and_saveexec_b64 s[50:51], s[48:49]
	s_cbranch_execz .LBB15_101
; %bb.100:
	v_mad_i32_i24 v9, v2, -6, v8
	ds_read_u16 v9, v9 offset:4608
	v_lshlrev_b32_e32 v20, 1, v2
	v_mov_b32_e32 v21, 0
	s_waitcnt lgkmcnt(0)
	v_lshrrev_b32_sdwa v10, s88, v9 dst_sel:DWORD dst_unused:UNUSED_PAD src0_sel:DWORD src1_sel:WORD_0
	v_and_b32_e32 v10, s96, v10
	v_lshlrev_b32_e32 v10, 3, v10
	ds_read_b64 v[10:11], v10
	v_xor_b32_e32 v9, -1, v9
	s_waitcnt lgkmcnt(0)
	v_lshl_add_u64 v[10:11], v[10:11], 1, s[78:79]
	v_lshl_add_u64 v[10:11], v[10:11], 0, v[20:21]
	global_store_short v[10:11], v9, off offset:2560
.LBB15_101:
	s_or_b64 exec, exec, s[50:51]
	v_add_u32_e32 v17, 0x600, v2
	;; [unrolled: 21-line block ×3, first 2 shown]
	v_cmp_gt_u32_e64 s[52:53], s90, v18
	s_and_saveexec_b64 s[54:55], s[52:53]
	s_cbranch_execz .LBB15_105
; %bb.104:
	v_lshlrev_b32_e32 v10, 1, v2
	ds_read_u16 v9, v10 offset:5632
	s_waitcnt lgkmcnt(0)
	v_lshrrev_b32_sdwa v11, s88, v9 dst_sel:DWORD dst_unused:UNUSED_PAD src0_sel:DWORD src1_sel:WORD_0
	v_and_b32_e32 v11, s96, v11
	v_lshlrev_b32_e32 v11, 3, v11
	ds_read_b64 v[20:21], v11
	v_mov_b32_e32 v11, 0
	v_xor_b32_e32 v9, -1, v9
	s_waitcnt lgkmcnt(0)
	v_lshl_add_u64 v[20:21], v[20:21], 1, s[78:79]
	v_lshl_add_u64 v[10:11], v[20:21], 0, v[10:11]
	global_store_short v[10:11], v9, off offset:3584
.LBB15_105:
	s_or_b64 exec, exec, s[54:55]
	v_or_b32_e32 v20, 0x800, v2
	v_cmp_gt_u32_e64 s[54:55], s90, v20
	s_and_saveexec_b64 s[56:57], s[54:55]
	s_cbranch_execz .LBB15_107
; %bb.106:
	v_lshlrev_b32_e32 v9, 1, v2
	ds_read_u16 v9, v9 offset:6144
	v_lshlrev_b32_e32 v22, 1, v20
	v_mov_b32_e32 v23, 0
	s_waitcnt lgkmcnt(0)
	v_lshrrev_b32_sdwa v10, s88, v9 dst_sel:DWORD dst_unused:UNUSED_PAD src0_sel:DWORD src1_sel:WORD_0
	v_and_b32_e32 v10, s96, v10
	v_lshlrev_b32_e32 v10, 3, v10
	ds_read_b64 v[10:11], v10
	v_xor_b32_e32 v9, -1, v9
	s_waitcnt lgkmcnt(0)
	v_lshl_add_u64 v[10:11], v[10:11], 1, s[78:79]
	v_lshl_add_u64 v[10:11], v[10:11], 0, v[22:23]
	global_store_short v[10:11], v9, off
.LBB15_107:
	s_or_b64 exec, exec, s[56:57]
	v_add_u32_e32 v21, 0x900, v2
	v_cmp_gt_u32_e64 s[56:57], s90, v21
	s_and_saveexec_b64 s[58:59], s[56:57]
	s_cbranch_execz .LBB15_109
; %bb.108:
	v_lshlrev_b32_e32 v9, 1, v2
	ds_read_u16 v9, v9 offset:6656
	v_lshlrev_b32_e32 v22, 1, v21
	v_mov_b32_e32 v23, 0
	s_waitcnt lgkmcnt(0)
	v_lshrrev_b32_sdwa v10, s88, v9 dst_sel:DWORD dst_unused:UNUSED_PAD src0_sel:DWORD src1_sel:WORD_0
	v_and_b32_e32 v10, s96, v10
	v_lshlrev_b32_e32 v10, 3, v10
	ds_read_b64 v[10:11], v10
	v_xor_b32_e32 v9, -1, v9
	s_waitcnt lgkmcnt(0)
	v_lshl_add_u64 v[10:11], v[10:11], 1, s[78:79]
	v_lshl_add_u64 v[10:11], v[10:11], 0, v[22:23]
	global_store_short v[10:11], v9, off
.LBB15_109:
	s_or_b64 exec, exec, s[58:59]
	v_add_u32_e32 v22, 0xa00, v2
	;; [unrolled: 21-line block ×3, first 2 shown]
	v_cmp_gt_u32_e64 s[60:61], s90, v23
	s_and_saveexec_b64 s[62:63], s[60:61]
	s_cbranch_execz .LBB15_113
; %bb.112:
	v_lshlrev_b32_e32 v9, 1, v2
	ds_read_u16 v9, v9 offset:7680
	v_lshlrev_b32_e32 v24, 1, v23
	v_mov_b32_e32 v25, 0
	s_waitcnt lgkmcnt(0)
	v_lshrrev_b32_sdwa v10, s88, v9 dst_sel:DWORD dst_unused:UNUSED_PAD src0_sel:DWORD src1_sel:WORD_0
	v_and_b32_e32 v10, s96, v10
	v_lshlrev_b32_e32 v10, 3, v10
	ds_read_b64 v[10:11], v10
	v_xor_b32_e32 v9, -1, v9
	s_waitcnt lgkmcnt(0)
	v_lshl_add_u64 v[10:11], v[10:11], 1, s[78:79]
	v_lshl_add_u64 v[10:11], v[10:11], 0, v[24:25]
	global_store_short v[10:11], v9, off
.LBB15_113:
	s_or_b64 exec, exec, s[62:63]
	v_or_b32_e32 v24, 0xc00, v2
	v_cmp_gt_u32_e64 s[62:63], s90, v24
	s_and_saveexec_b64 s[64:65], s[62:63]
	s_cbranch_execz .LBB15_115
; %bb.114:
	v_lshlrev_b32_e32 v9, 1, v2
	ds_read_u16 v9, v9 offset:8192
	v_lshlrev_b32_e32 v26, 1, v24
	v_mov_b32_e32 v27, 0
	s_waitcnt lgkmcnt(0)
	v_lshrrev_b32_sdwa v10, s88, v9 dst_sel:DWORD dst_unused:UNUSED_PAD src0_sel:DWORD src1_sel:WORD_0
	v_and_b32_e32 v10, s96, v10
	v_lshlrev_b32_e32 v10, 3, v10
	ds_read_b64 v[10:11], v10
	v_xor_b32_e32 v9, -1, v9
	s_waitcnt lgkmcnt(0)
	v_lshl_add_u64 v[10:11], v[10:11], 1, s[78:79]
	v_lshl_add_u64 v[10:11], v[10:11], 0, v[26:27]
	global_store_short v[10:11], v9, off
.LBB15_115:
	s_or_b64 exec, exec, s[64:65]
	v_add_u32_e32 v25, 0xd00, v2
	v_cmp_gt_u32_e64 s[64:65], s90, v25
	s_and_saveexec_b64 s[66:67], s[64:65]
	s_cbranch_execz .LBB15_117
; %bb.116:
	v_lshlrev_b32_e32 v9, 1, v2
	ds_read_u16 v9, v9 offset:8704
	v_lshlrev_b32_e32 v26, 1, v25
	v_mov_b32_e32 v27, 0
	s_waitcnt lgkmcnt(0)
	v_lshrrev_b32_sdwa v10, s88, v9 dst_sel:DWORD dst_unused:UNUSED_PAD src0_sel:DWORD src1_sel:WORD_0
	v_and_b32_e32 v10, s96, v10
	v_lshlrev_b32_e32 v10, 3, v10
	ds_read_b64 v[10:11], v10
	v_xor_b32_e32 v9, -1, v9
	s_waitcnt lgkmcnt(0)
	v_lshl_add_u64 v[10:11], v[10:11], 1, s[78:79]
	v_lshl_add_u64 v[10:11], v[10:11], 0, v[26:27]
	global_store_short v[10:11], v9, off
.LBB15_117:
	s_or_b64 exec, exec, s[66:67]
	v_add_u32_e32 v26, 0xe00, v2
	;; [unrolled: 21-line block ×3, first 2 shown]
	v_cmp_gt_u32_e64 s[68:69], s90, v27
	s_and_saveexec_b64 s[70:71], s[68:69]
	s_cbranch_execz .LBB15_121
; %bb.120:
	v_lshlrev_b32_e32 v9, 1, v2
	ds_read_u16 v9, v9 offset:9728
	v_lshlrev_b32_e32 v46, 1, v27
	v_mov_b32_e32 v47, 0
	s_waitcnt lgkmcnt(0)
	v_lshrrev_b32_sdwa v10, s88, v9 dst_sel:DWORD dst_unused:UNUSED_PAD src0_sel:DWORD src1_sel:WORD_0
	v_and_b32_e32 v10, s96, v10
	v_lshlrev_b32_e32 v10, 3, v10
	ds_read_b64 v[10:11], v10
	v_xor_b32_e32 v9, -1, v9
	s_waitcnt lgkmcnt(0)
	v_lshl_add_u64 v[10:11], v[10:11], 1, s[78:79]
	v_lshl_add_u64 v[10:11], v[10:11], 0, v[46:47]
	global_store_short v[10:11], v9, off
.LBB15_121:
	s_or_b64 exec, exec, s[70:71]
	v_or_b32_e32 v41, 0x1000, v2
	v_cmp_gt_u32_e64 s[70:71], s90, v41
	s_and_saveexec_b64 s[72:73], s[70:71]
	s_cbranch_execz .LBB15_123
; %bb.122:
	v_lshlrev_b32_e32 v9, 1, v2
	ds_read_u16 v9, v9 offset:10240
	v_lshlrev_b32_e32 v46, 1, v41
	v_mov_b32_e32 v47, 0
	s_waitcnt lgkmcnt(0)
	v_lshrrev_b32_sdwa v10, s88, v9 dst_sel:DWORD dst_unused:UNUSED_PAD src0_sel:DWORD src1_sel:WORD_0
	v_and_b32_e32 v10, s96, v10
	v_lshlrev_b32_e32 v10, 3, v10
	ds_read_b64 v[10:11], v10
	v_xor_b32_e32 v9, -1, v9
	s_waitcnt lgkmcnt(0)
	v_lshl_add_u64 v[10:11], v[10:11], 1, s[78:79]
	v_lshl_add_u64 v[10:11], v[10:11], 0, v[46:47]
	global_store_short v[10:11], v9, off
.LBB15_123:
	s_or_b64 exec, exec, s[72:73]
	v_add_u32_e32 v43, 0x1100, v2
	v_cmp_gt_u32_e64 s[72:73], s90, v43
	s_and_saveexec_b64 s[90:91], s[72:73]
	s_cbranch_execz .LBB15_125
; %bb.124:
	v_lshlrev_b32_e32 v9, 1, v2
	ds_read_u16 v9, v9 offset:10752
	v_lshlrev_b32_e32 v46, 1, v43
	v_mov_b32_e32 v47, 0
	s_waitcnt lgkmcnt(0)
	v_lshrrev_b32_sdwa v10, s88, v9 dst_sel:DWORD dst_unused:UNUSED_PAD src0_sel:DWORD src1_sel:WORD_0
	v_and_b32_e32 v10, s96, v10
	v_lshlrev_b32_e32 v10, 3, v10
	ds_read_b64 v[10:11], v10
	v_xor_b32_e32 v9, -1, v9
	s_waitcnt lgkmcnt(0)
	v_lshl_add_u64 v[10:11], v[10:11], 1, s[78:79]
	v_lshl_add_u64 v[10:11], v[10:11], 0, v[46:47]
	global_store_short v[10:11], v9, off
.LBB15_125:
	s_or_b64 exec, exec, s[90:91]
	s_lshl_b64 s[90:91], s[92:93], 3
	s_add_u32 s90, s80, s90
	s_addc_u32 s91, s81, s91
	v_lshlrev_b32_e32 v10, 3, v3
	v_mov_b32_e32 v11, 0
	v_lshl_add_u64 v[46:47], s[90:91], 0, v[10:11]
	v_lshlrev_b32_e32 v10, 3, v14
	v_lshl_add_u64 v[10:11], v[46:47], 0, v[10:11]
                                        ; implicit-def: $vgpr60_vgpr61
	s_and_saveexec_b64 s[90:91], vcc
	s_xor_b64 s[90:91], exec, s[90:91]
	s_cbranch_execz .LBB15_143
; %bb.126:
	global_load_dwordx2 v[60:61], v[10:11], off
	s_or_b64 exec, exec, s[90:91]
                                        ; implicit-def: $vgpr62_vgpr63
	s_and_saveexec_b64 s[90:91], s[74:75]
	s_cbranch_execnz .LBB15_144
.LBB15_127:
	s_or_b64 exec, exec, s[90:91]
                                        ; implicit-def: $vgpr64_vgpr65
	s_and_saveexec_b64 s[74:75], s[4:5]
	s_cbranch_execz .LBB15_145
.LBB15_128:
	global_load_dwordx2 v[64:65], v[10:11], off offset:1024
	s_or_b64 exec, exec, s[74:75]
                                        ; implicit-def: $vgpr66_vgpr67
	s_and_saveexec_b64 s[4:5], s[10:11]
	s_cbranch_execnz .LBB15_146
.LBB15_129:
	s_or_b64 exec, exec, s[4:5]
                                        ; implicit-def: $vgpr68_vgpr69
	s_and_saveexec_b64 s[4:5], s[16:17]
	s_cbranch_execz .LBB15_147
.LBB15_130:
	global_load_dwordx2 v[68:69], v[10:11], off offset:2048
	s_or_b64 exec, exec, s[4:5]
                                        ; implicit-def: $vgpr70_vgpr71
	s_and_saveexec_b64 s[4:5], s[20:21]
	s_cbranch_execnz .LBB15_148
.LBB15_131:
	s_or_b64 exec, exec, s[4:5]
                                        ; implicit-def: $vgpr72_vgpr73
	s_and_saveexec_b64 s[4:5], s[24:25]
	s_cbranch_execz .LBB15_149
.LBB15_132:
	global_load_dwordx2 v[72:73], v[10:11], off offset:3072
	s_or_b64 exec, exec, s[4:5]
                                        ; implicit-def: $vgpr74_vgpr75
	s_and_saveexec_b64 s[4:5], s[30:31]
	s_cbranch_execnz .LBB15_150
.LBB15_133:
	s_or_b64 exec, exec, s[4:5]
                                        ; implicit-def: $vgpr76_vgpr77
	s_and_saveexec_b64 s[4:5], s[36:37]
	s_cbranch_execz .LBB15_151
.LBB15_134:
	v_add_co_u32_e32 v46, vcc, 0x1000, v10
	s_nop 1
	v_addc_co_u32_e32 v47, vcc, 0, v11, vcc
	global_load_dwordx2 v[76:77], v[46:47], off
	s_or_b64 exec, exec, s[4:5]
                                        ; implicit-def: $vgpr78_vgpr79
	s_and_saveexec_b64 s[4:5], s[34:35]
	s_cbranch_execnz .LBB15_152
.LBB15_135:
	s_or_b64 exec, exec, s[4:5]
                                        ; implicit-def: $vgpr80_vgpr81
	s_and_saveexec_b64 s[4:5], s[28:29]
	s_cbranch_execz .LBB15_153
.LBB15_136:
	v_add_co_u32_e32 v46, vcc, 0x1000, v10
	s_nop 1
	v_addc_co_u32_e32 v47, vcc, 0, v11, vcc
	global_load_dwordx2 v[80:81], v[46:47], off offset:1024
	s_or_b64 exec, exec, s[4:5]
                                        ; implicit-def: $vgpr82_vgpr83
	s_and_saveexec_b64 s[4:5], s[26:27]
	s_cbranch_execnz .LBB15_154
.LBB15_137:
	s_or_b64 exec, exec, s[4:5]
                                        ; implicit-def: $vgpr84_vgpr85
	s_and_saveexec_b64 s[4:5], s[22:23]
	s_cbranch_execz .LBB15_155
.LBB15_138:
	v_add_co_u32_e32 v46, vcc, 0x1000, v10
	s_nop 1
	v_addc_co_u32_e32 v47, vcc, 0, v11, vcc
	global_load_dwordx2 v[84:85], v[46:47], off offset:2048
	s_or_b64 exec, exec, s[4:5]
                                        ; implicit-def: $vgpr86_vgpr87
	s_and_saveexec_b64 s[4:5], s[18:19]
	s_cbranch_execnz .LBB15_156
.LBB15_139:
	s_or_b64 exec, exec, s[4:5]
                                        ; implicit-def: $vgpr88_vgpr89
	s_and_saveexec_b64 s[4:5], s[14:15]
	s_cbranch_execz .LBB15_157
.LBB15_140:
	v_add_co_u32_e32 v46, vcc, 0x1000, v10
	s_nop 1
	v_addc_co_u32_e32 v47, vcc, 0, v11, vcc
	global_load_dwordx2 v[88:89], v[46:47], off offset:3072
	s_or_b64 exec, exec, s[4:5]
                                        ; implicit-def: $vgpr90_vgpr91
	s_and_saveexec_b64 s[4:5], s[12:13]
	s_cbranch_execnz .LBB15_158
.LBB15_141:
	s_or_b64 exec, exec, s[4:5]
                                        ; implicit-def: $vgpr92_vgpr93
	s_and_saveexec_b64 s[4:5], s[8:9]
	s_cbranch_execz .LBB15_159
.LBB15_142:
	v_add_co_u32_e32 v46, vcc, 0x2000, v10
	s_nop 1
	v_addc_co_u32_e32 v47, vcc, 0, v11, vcc
	global_load_dwordx2 v[92:93], v[46:47], off
	s_or_b64 exec, exec, s[4:5]
                                        ; implicit-def: $vgpr94_vgpr95
	s_and_saveexec_b64 s[4:5], s[6:7]
	s_cbranch_execnz .LBB15_160
	s_branch .LBB15_161
.LBB15_143:
	s_or_b64 exec, exec, s[90:91]
                                        ; implicit-def: $vgpr62_vgpr63
	s_and_saveexec_b64 s[90:91], s[74:75]
	s_cbranch_execz .LBB15_127
.LBB15_144:
	global_load_dwordx2 v[62:63], v[10:11], off offset:512
	s_or_b64 exec, exec, s[90:91]
                                        ; implicit-def: $vgpr64_vgpr65
	s_and_saveexec_b64 s[74:75], s[4:5]
	s_cbranch_execnz .LBB15_128
.LBB15_145:
	s_or_b64 exec, exec, s[74:75]
                                        ; implicit-def: $vgpr66_vgpr67
	s_and_saveexec_b64 s[4:5], s[10:11]
	s_cbranch_execz .LBB15_129
.LBB15_146:
	global_load_dwordx2 v[66:67], v[10:11], off offset:1536
	s_or_b64 exec, exec, s[4:5]
                                        ; implicit-def: $vgpr68_vgpr69
	s_and_saveexec_b64 s[4:5], s[16:17]
	s_cbranch_execnz .LBB15_130
.LBB15_147:
	s_or_b64 exec, exec, s[4:5]
                                        ; implicit-def: $vgpr70_vgpr71
	s_and_saveexec_b64 s[4:5], s[20:21]
	s_cbranch_execz .LBB15_131
.LBB15_148:
	global_load_dwordx2 v[70:71], v[10:11], off offset:2560
	s_or_b64 exec, exec, s[4:5]
                                        ; implicit-def: $vgpr72_vgpr73
	s_and_saveexec_b64 s[4:5], s[24:25]
	s_cbranch_execnz .LBB15_132
.LBB15_149:
	s_or_b64 exec, exec, s[4:5]
                                        ; implicit-def: $vgpr74_vgpr75
	s_and_saveexec_b64 s[4:5], s[30:31]
	s_cbranch_execz .LBB15_133
.LBB15_150:
	global_load_dwordx2 v[74:75], v[10:11], off offset:3584
	s_or_b64 exec, exec, s[4:5]
                                        ; implicit-def: $vgpr76_vgpr77
	s_and_saveexec_b64 s[4:5], s[36:37]
	s_cbranch_execnz .LBB15_134
.LBB15_151:
	s_or_b64 exec, exec, s[4:5]
                                        ; implicit-def: $vgpr78_vgpr79
	s_and_saveexec_b64 s[4:5], s[34:35]
	s_cbranch_execz .LBB15_135
.LBB15_152:
	v_add_co_u32_e32 v46, vcc, 0x1000, v10
	s_nop 1
	v_addc_co_u32_e32 v47, vcc, 0, v11, vcc
	global_load_dwordx2 v[78:79], v[46:47], off offset:512
	s_or_b64 exec, exec, s[4:5]
                                        ; implicit-def: $vgpr80_vgpr81
	s_and_saveexec_b64 s[4:5], s[28:29]
	s_cbranch_execnz .LBB15_136
.LBB15_153:
	s_or_b64 exec, exec, s[4:5]
                                        ; implicit-def: $vgpr82_vgpr83
	s_and_saveexec_b64 s[4:5], s[26:27]
	s_cbranch_execz .LBB15_137
.LBB15_154:
	v_add_co_u32_e32 v46, vcc, 0x1000, v10
	s_nop 1
	v_addc_co_u32_e32 v47, vcc, 0, v11, vcc
	global_load_dwordx2 v[82:83], v[46:47], off offset:1536
	s_or_b64 exec, exec, s[4:5]
                                        ; implicit-def: $vgpr84_vgpr85
	s_and_saveexec_b64 s[4:5], s[22:23]
	s_cbranch_execnz .LBB15_138
.LBB15_155:
	s_or_b64 exec, exec, s[4:5]
                                        ; implicit-def: $vgpr86_vgpr87
	s_and_saveexec_b64 s[4:5], s[18:19]
	s_cbranch_execz .LBB15_139
.LBB15_156:
	v_add_co_u32_e32 v46, vcc, 0x1000, v10
	s_nop 1
	v_addc_co_u32_e32 v47, vcc, 0, v11, vcc
	global_load_dwordx2 v[86:87], v[46:47], off offset:2560
	s_or_b64 exec, exec, s[4:5]
                                        ; implicit-def: $vgpr88_vgpr89
	s_and_saveexec_b64 s[4:5], s[14:15]
	s_cbranch_execnz .LBB15_140
.LBB15_157:
	s_or_b64 exec, exec, s[4:5]
                                        ; implicit-def: $vgpr90_vgpr91
	s_and_saveexec_b64 s[4:5], s[12:13]
	s_cbranch_execz .LBB15_141
.LBB15_158:
	v_add_co_u32_e32 v46, vcc, 0x1000, v10
	s_nop 1
	v_addc_co_u32_e32 v47, vcc, 0, v11, vcc
	global_load_dwordx2 v[90:91], v[46:47], off offset:3584
	s_or_b64 exec, exec, s[4:5]
                                        ; implicit-def: $vgpr92_vgpr93
	s_and_saveexec_b64 s[4:5], s[8:9]
	s_cbranch_execnz .LBB15_142
.LBB15_159:
	s_or_b64 exec, exec, s[4:5]
                                        ; implicit-def: $vgpr94_vgpr95
	s_and_saveexec_b64 s[4:5], s[6:7]
	s_cbranch_execz .LBB15_161
.LBB15_160:
	v_add_co_u32_e32 v10, vcc, 0x2000, v10
	s_nop 1
	v_addc_co_u32_e32 v11, vcc, 0, v11, vcc
	global_load_dwordx2 v[94:95], v[10:11], off offset:512
.LBB15_161:
	s_or_b64 exec, exec, s[4:5]
	v_mov_b32_e32 v56, 0
	v_mov_b32_e32 v9, 0
	s_and_saveexec_b64 s[4:5], s[38:39]
	s_cbranch_execz .LBB15_163
; %bb.162:
	v_lshlrev_b32_e32 v3, 1, v2
	ds_read_u16 v3, v3 offset:2048
	s_waitcnt lgkmcnt(0)
	v_lshrrev_b32_e32 v3, s88, v3
	v_and_b32_e32 v9, s96, v3
.LBB15_163:
	s_or_b64 exec, exec, s[4:5]
	s_and_saveexec_b64 s[4:5], s[40:41]
	s_cbranch_execz .LBB15_165
; %bb.164:
	v_lshlrev_b32_e32 v3, 1, v2
	ds_read_u16 v3, v3 offset:2560
	s_waitcnt lgkmcnt(0)
	v_lshrrev_b32_e32 v3, s88, v3
	v_and_b32_e32 v56, s96, v3
.LBB15_165:
	s_or_b64 exec, exec, s[4:5]
	v_mov_b32_e32 v54, 0
	v_mov_b32_e32 v58, 0
	s_and_saveexec_b64 s[4:5], s[42:43]
	s_cbranch_execz .LBB15_167
; %bb.166:
	v_lshlrev_b32_e32 v3, 1, v2
	ds_read_u16 v3, v3 offset:3072
	s_waitcnt lgkmcnt(0)
	v_lshrrev_b32_e32 v3, s88, v3
	v_and_b32_e32 v58, s96, v3
.LBB15_167:
	s_or_b64 exec, exec, s[4:5]
	s_and_saveexec_b64 s[4:5], s[44:45]
	s_cbranch_execz .LBB15_169
; %bb.168:
	v_lshlrev_b32_e32 v3, 1, v2
	ds_read_u16 v3, v3 offset:3584
	s_waitcnt lgkmcnt(0)
	v_lshrrev_b32_e32 v3, s88, v3
	v_and_b32_e32 v54, s96, v3
.LBB15_169:
	s_or_b64 exec, exec, s[4:5]
	v_mov_b32_e32 v52, 0
	v_mov_b32_e32 v57, 0
	s_and_saveexec_b64 s[4:5], s[46:47]
	s_cbranch_execz .LBB15_171
; %bb.170:
	v_lshlrev_b32_e32 v3, 1, v2
	ds_read_u16 v3, v3 offset:4096
	s_waitcnt lgkmcnt(0)
	v_lshrrev_b32_e32 v3, s88, v3
	v_and_b32_e32 v57, s96, v3
.LBB15_171:
	s_or_b64 exec, exec, s[4:5]
	s_and_saveexec_b64 s[4:5], s[48:49]
	s_cbranch_execz .LBB15_173
; %bb.172:
	v_lshlrev_b32_e32 v3, 1, v2
	ds_read_u16 v3, v3 offset:4608
	s_waitcnt lgkmcnt(0)
	v_lshrrev_b32_e32 v3, s88, v3
	v_and_b32_e32 v52, s96, v3
.LBB15_173:
	s_or_b64 exec, exec, s[4:5]
	v_mov_b32_e32 v50, 0
	v_mov_b32_e32 v55, 0
	s_and_saveexec_b64 s[4:5], s[50:51]
	s_cbranch_execz .LBB15_175
; %bb.174:
	v_lshlrev_b32_e32 v3, 1, v2
	ds_read_u16 v3, v3 offset:5120
	s_waitcnt lgkmcnt(0)
	v_lshrrev_b32_e32 v3, s88, v3
	v_and_b32_e32 v55, s96, v3
.LBB15_175:
	s_or_b64 exec, exec, s[4:5]
	s_and_saveexec_b64 s[4:5], s[52:53]
	s_cbranch_execz .LBB15_177
; %bb.176:
	v_lshlrev_b32_e32 v3, 1, v2
	ds_read_u16 v3, v3 offset:5632
	s_waitcnt lgkmcnt(0)
	v_lshrrev_b32_e32 v3, s88, v3
	v_and_b32_e32 v50, s96, v3
.LBB15_177:
	s_or_b64 exec, exec, s[4:5]
	v_mov_b32_e32 v47, 0
	v_mov_b32_e32 v53, 0
	s_and_saveexec_b64 s[4:5], s[54:55]
	s_cbranch_execz .LBB15_179
; %bb.178:
	v_lshlrev_b32_e32 v3, 1, v2
	ds_read_u16 v3, v3 offset:6144
	s_waitcnt lgkmcnt(0)
	v_lshrrev_b32_e32 v3, s88, v3
	v_and_b32_e32 v53, s96, v3
.LBB15_179:
	s_or_b64 exec, exec, s[4:5]
	s_and_saveexec_b64 s[4:5], s[56:57]
	s_cbranch_execz .LBB15_181
; %bb.180:
	v_lshlrev_b32_e32 v3, 1, v2
	ds_read_u16 v3, v3 offset:6656
	s_waitcnt lgkmcnt(0)
	v_lshrrev_b32_e32 v3, s88, v3
	v_and_b32_e32 v47, s96, v3
.LBB15_181:
	s_or_b64 exec, exec, s[4:5]
	v_mov_b32_e32 v44, 0
	v_mov_b32_e32 v51, 0
	s_and_saveexec_b64 s[4:5], s[58:59]
	s_cbranch_execz .LBB15_183
; %bb.182:
	v_lshlrev_b32_e32 v3, 1, v2
	ds_read_u16 v3, v3 offset:7168
	s_waitcnt lgkmcnt(0)
	v_lshrrev_b32_e32 v3, s88, v3
	v_and_b32_e32 v51, s96, v3
.LBB15_183:
	s_or_b64 exec, exec, s[4:5]
	s_and_saveexec_b64 s[4:5], s[60:61]
	s_cbranch_execz .LBB15_185
; %bb.184:
	v_lshlrev_b32_e32 v3, 1, v2
	ds_read_u16 v3, v3 offset:7680
	s_waitcnt lgkmcnt(0)
	v_lshrrev_b32_e32 v3, s88, v3
	v_and_b32_e32 v44, s96, v3
.LBB15_185:
	s_or_b64 exec, exec, s[4:5]
	v_mov_b32_e32 v11, 0
	v_mov_b32_e32 v49, 0
	s_and_saveexec_b64 s[4:5], s[62:63]
	s_cbranch_execz .LBB15_187
; %bb.186:
	v_lshlrev_b32_e32 v3, 1, v2
	ds_read_u16 v3, v3 offset:8192
	s_waitcnt lgkmcnt(0)
	v_lshrrev_b32_e32 v3, s88, v3
	v_and_b32_e32 v49, s96, v3
.LBB15_187:
	s_or_b64 exec, exec, s[4:5]
	s_and_saveexec_b64 s[4:5], s[64:65]
	s_cbranch_execz .LBB15_189
; %bb.188:
	v_lshlrev_b32_e32 v3, 1, v2
	ds_read_u16 v3, v3 offset:8704
	s_waitcnt lgkmcnt(0)
	v_lshrrev_b32_e32 v3, s88, v3
	v_and_b32_e32 v11, s96, v3
.LBB15_189:
	s_or_b64 exec, exec, s[4:5]
	v_mov_b32_e32 v10, 0
	v_mov_b32_e32 v46, 0
	s_and_saveexec_b64 s[4:5], s[66:67]
	s_cbranch_execz .LBB15_191
; %bb.190:
	v_lshlrev_b32_e32 v3, 1, v2
	ds_read_u16 v3, v3 offset:9216
	s_waitcnt lgkmcnt(0)
	v_lshrrev_b32_e32 v3, s88, v3
	v_and_b32_e32 v46, s96, v3
.LBB15_191:
	s_or_b64 exec, exec, s[4:5]
	s_and_saveexec_b64 s[4:5], s[68:69]
	s_cbranch_execz .LBB15_193
; %bb.192:
	v_lshlrev_b32_e32 v3, 1, v2
	ds_read_u16 v3, v3 offset:9728
	s_waitcnt lgkmcnt(0)
	v_lshrrev_b32_e32 v3, s88, v3
	v_and_b32_e32 v10, s96, v3
.LBB15_193:
	s_or_b64 exec, exec, s[4:5]
	v_mov_b32_e32 v3, 0
	v_mov_b32_e32 v14, 0
	s_and_saveexec_b64 s[4:5], s[70:71]
	s_cbranch_execz .LBB15_195
; %bb.194:
	v_lshlrev_b32_e32 v14, 1, v2
	ds_read_u16 v14, v14 offset:10240
	s_waitcnt lgkmcnt(0)
	v_lshrrev_b32_e32 v14, s88, v14
	v_and_b32_e32 v14, s96, v14
.LBB15_195:
	s_or_b64 exec, exec, s[4:5]
	s_and_saveexec_b64 s[4:5], s[72:73]
	s_cbranch_execz .LBB15_197
; %bb.196:
	v_lshlrev_b32_e32 v2, 1, v2
	ds_read_u16 v2, v2 offset:10752
	s_waitcnt lgkmcnt(0)
	v_lshrrev_b32_e32 v2, s88, v2
	v_and_b32_e32 v3, s96, v2
.LBB15_197:
	s_or_b64 exec, exec, s[4:5]
	v_lshlrev_b32_e32 v2, 3, v48
	s_barrier
	s_waitcnt vmcnt(0)
	ds_write_b64 v2, v[60:61] offset:2048
	v_lshlrev_b32_e32 v2, 3, v45
	ds_write_b64 v2, v[62:63] offset:2048
	v_lshlrev_b32_e32 v2, 3, v42
	;; [unrolled: 2-line block ×17, first 2 shown]
	ds_write_b64 v2, v[94:95] offset:2048
	s_waitcnt lgkmcnt(0)
	s_barrier
	s_and_saveexec_b64 s[4:5], s[38:39]
	s_cbranch_execz .LBB15_274
; %bb.198:
	v_lshlrev_b32_e32 v2, 3, v9
	ds_read_b64 v[28:29], v2
	ds_read_b64 v[30:31], v8 offset:2048
	v_mov_b32_e32 v9, 0
	s_waitcnt lgkmcnt(1)
	v_lshl_add_u64 v[28:29], v[28:29], 3, s[82:83]
	v_lshl_add_u64 v[28:29], v[28:29], 0, v[8:9]
	s_waitcnt lgkmcnt(0)
	global_store_dwordx2 v[28:29], v[30:31], off
	s_or_b64 exec, exec, s[4:5]
	s_and_saveexec_b64 s[4:5], s[40:41]
	s_cbranch_execnz .LBB15_275
.LBB15_199:
	s_or_b64 exec, exec, s[4:5]
	s_and_saveexec_b64 s[4:5], s[42:43]
	s_cbranch_execz .LBB15_276
.LBB15_200:
	v_lshlrev_b32_e32 v2, 3, v58
	ds_read_b64 v[28:29], v2
	ds_read_b64 v[30:31], v8 offset:6144
	v_lshlrev_b32_e32 v32, 3, v12
	v_mov_b32_e32 v33, 0
	s_waitcnt lgkmcnt(1)
	v_lshl_add_u64 v[28:29], v[28:29], 3, s[82:83]
	v_lshl_add_u64 v[28:29], v[28:29], 0, v[32:33]
	s_waitcnt lgkmcnt(0)
	global_store_dwordx2 v[28:29], v[30:31], off
	s_or_b64 exec, exec, s[4:5]
	s_and_saveexec_b64 s[4:5], s[44:45]
	s_cbranch_execnz .LBB15_277
.LBB15_201:
	s_or_b64 exec, exec, s[4:5]
	s_and_saveexec_b64 s[4:5], s[46:47]
	s_cbranch_execz .LBB15_278
.LBB15_202:
	v_lshlrev_b32_e32 v2, 3, v57
	ds_read_b64 v[12:13], v2
	ds_read_b64 v[28:29], v8 offset:10240
	v_lshlrev_b32_e32 v30, 3, v15
	v_mov_b32_e32 v31, 0
	s_waitcnt lgkmcnt(1)
	v_lshl_add_u64 v[12:13], v[12:13], 3, s[82:83]
	v_lshl_add_u64 v[12:13], v[12:13], 0, v[30:31]
	s_waitcnt lgkmcnt(0)
	global_store_dwordx2 v[12:13], v[28:29], off
	s_or_b64 exec, exec, s[4:5]
	s_and_saveexec_b64 s[4:5], s[48:49]
	s_cbranch_execnz .LBB15_279
.LBB15_203:
	s_or_b64 exec, exec, s[4:5]
	s_and_saveexec_b64 s[4:5], s[50:51]
	s_cbranch_execz .LBB15_280
.LBB15_204:
	v_lshlrev_b32_e32 v2, 3, v55
	ds_read_b64 v[12:13], v2
	ds_read_b64 v[28:29], v8 offset:14336
	v_lshlrev_b32_e32 v16, 3, v17
	v_mov_b32_e32 v17, 0
	s_waitcnt lgkmcnt(1)
	v_lshl_add_u64 v[12:13], v[12:13], 3, s[82:83]
	v_lshl_add_u64 v[12:13], v[12:13], 0, v[16:17]
	s_waitcnt lgkmcnt(0)
	global_store_dwordx2 v[12:13], v[28:29], off
	s_or_b64 exec, exec, s[4:5]
	s_and_saveexec_b64 s[4:5], s[52:53]
	s_cbranch_execnz .LBB15_281
.LBB15_205:
	s_or_b64 exec, exec, s[4:5]
	s_and_saveexec_b64 s[4:5], s[54:55]
	s_cbranch_execz .LBB15_282
.LBB15_206:
	v_lshlrev_b32_e32 v2, 3, v53
	ds_read_b64 v[12:13], v2
	ds_read_b64 v[16:17], v8 offset:18432
	v_lshlrev_b32_e32 v18, 3, v20
	v_mov_b32_e32 v19, 0
	s_waitcnt lgkmcnt(1)
	v_lshl_add_u64 v[12:13], v[12:13], 3, s[82:83]
	v_lshl_add_u64 v[12:13], v[12:13], 0, v[18:19]
	s_waitcnt lgkmcnt(0)
	global_store_dwordx2 v[12:13], v[16:17], off
	s_or_b64 exec, exec, s[4:5]
	s_and_saveexec_b64 s[4:5], s[56:57]
	s_cbranch_execnz .LBB15_283
.LBB15_207:
	s_or_b64 exec, exec, s[4:5]
	s_and_saveexec_b64 s[4:5], s[58:59]
	s_cbranch_execz .LBB15_284
.LBB15_208:
	v_lshlrev_b32_e32 v2, 3, v51
	ds_read_b64 v[12:13], v2
	ds_read_b64 v[16:17], v8 offset:22528
	v_lshlrev_b32_e32 v18, 3, v22
	v_mov_b32_e32 v19, 0
	s_waitcnt lgkmcnt(1)
	v_lshl_add_u64 v[12:13], v[12:13], 3, s[82:83]
	v_lshl_add_u64 v[12:13], v[12:13], 0, v[18:19]
	s_waitcnt lgkmcnt(0)
	global_store_dwordx2 v[12:13], v[16:17], off
	s_or_b64 exec, exec, s[4:5]
	s_and_saveexec_b64 s[4:5], s[60:61]
	s_cbranch_execnz .LBB15_285
.LBB15_209:
	s_or_b64 exec, exec, s[4:5]
	s_and_saveexec_b64 s[4:5], s[62:63]
	s_cbranch_execz .LBB15_286
.LBB15_210:
	v_lshlrev_b32_e32 v2, 3, v49
	ds_read_b64 v[12:13], v2
	ds_read_b64 v[16:17], v8 offset:26624
	v_lshlrev_b32_e32 v18, 3, v24
	v_mov_b32_e32 v19, 0
	s_waitcnt lgkmcnt(1)
	v_lshl_add_u64 v[12:13], v[12:13], 3, s[82:83]
	v_lshl_add_u64 v[12:13], v[12:13], 0, v[18:19]
	s_waitcnt lgkmcnt(0)
	global_store_dwordx2 v[12:13], v[16:17], off
	s_or_b64 exec, exec, s[4:5]
	s_and_saveexec_b64 s[4:5], s[64:65]
	s_cbranch_execnz .LBB15_287
.LBB15_211:
	s_or_b64 exec, exec, s[4:5]
	s_and_saveexec_b64 s[4:5], s[66:67]
	s_cbranch_execz .LBB15_288
.LBB15_212:
	v_lshlrev_b32_e32 v2, 3, v46
	ds_read_b64 v[12:13], v2
	ds_read_b64 v[16:17], v8 offset:30720
	v_lshlrev_b32_e32 v18, 3, v26
	v_mov_b32_e32 v19, 0
	s_waitcnt lgkmcnt(1)
	v_lshl_add_u64 v[12:13], v[12:13], 3, s[82:83]
	v_lshl_add_u64 v[12:13], v[12:13], 0, v[18:19]
	s_waitcnt lgkmcnt(0)
	global_store_dwordx2 v[12:13], v[16:17], off
	s_or_b64 exec, exec, s[4:5]
	s_and_saveexec_b64 s[4:5], s[68:69]
	s_cbranch_execnz .LBB15_289
.LBB15_213:
	s_or_b64 exec, exec, s[4:5]
	s_and_saveexec_b64 s[4:5], s[70:71]
	s_cbranch_execz .LBB15_290
.LBB15_214:
	v_lshlrev_b32_e32 v2, 3, v14
	ds_read_b64 v[10:11], v2
	ds_read_b64 v[12:13], v8 offset:34816
	v_lshlrev_b32_e32 v14, 3, v41
	v_mov_b32_e32 v15, 0
	s_waitcnt lgkmcnt(1)
	v_lshl_add_u64 v[10:11], v[10:11], 3, s[82:83]
	v_lshl_add_u64 v[10:11], v[10:11], 0, v[14:15]
	s_waitcnt lgkmcnt(0)
	global_store_dwordx2 v[10:11], v[12:13], off
	s_or_b64 exec, exec, s[4:5]
	s_and_saveexec_b64 s[4:5], s[72:73]
	s_cbranch_execnz .LBB15_291
.LBB15_215:
	s_or_b64 exec, exec, s[4:5]
	s_add_i32 s33, s33, -1
	s_cmp_eq_u32 s2, s33
	s_cbranch_scc0 .LBB15_217
.LBB15_216:
	ds_read_b64 v[2:3], v8
	v_mov_b32_e32 v7, 0
	v_lshl_add_u64 v[4:5], v[6:7], 0, v[4:5]
	s_waitcnt lgkmcnt(0)
	v_lshl_add_u64 v[2:3], v[4:5], 0, v[2:3]
	global_store_dwordx2 v8, v[2:3], s[86:87]
.LBB15_217:
	s_mov_b64 s[4:5], 0
.LBB15_218:
	s_and_b64 vcc, exec, s[4:5]
	s_cbranch_vccz .LBB15_273
; %bb.219:
	s_mov_b32 s93, 0
	s_lshl_b64 s[4:5], s[92:93], 1
	s_add_u32 s4, s76, s4
	v_mbcnt_hi_u32_b32 v12, -1, v1
	s_addc_u32 s5, s77, s5
	v_mov_b32_e32 v5, 0
	v_lshlrev_b32_e32 v4, 1, v12
	v_lshl_add_u64 v[6:7], s[4:5], 0, v[4:5]
	s_load_dword s8, s[0:1], 0x50
	s_load_dword s4, s[0:1], 0x5c
	v_and_b32_e32 v8, 0xc0, v0
	v_mul_u32_u24_e32 v3, 18, v8
	s_add_u32 s0, s0, 0x50
	v_lshlrev_b32_e32 v4, 1, v3
	s_addc_u32 s1, s1, 0
	s_waitcnt lgkmcnt(0)
	s_lshr_b32 s4, s4, 16
	v_lshl_add_u64 v[16:17], v[6:7], 0, v[4:5]
	s_cmp_lt_u32 s2, s8
	global_load_ushort v1, v[16:17], off
	s_cselect_b32 s5, 12, 18
	s_add_u32 s0, s0, s5
	s_addc_u32 s1, s1, 0
	global_load_ushort v9, v5, s[0:1]
	v_and_b32_e32 v2, 0x3ff, v0
	v_mul_u32_u24_e32 v6, 20, v2
	ds_write2_b32 v6, v5, v5 offset0:4 offset1:5
	ds_write2_b32 v6, v5, v5 offset0:6 offset1:7
	ds_write_b32 v6, v5 offset:32
	global_load_ushort v10, v[16:17], off offset:128
	global_load_ushort v15, v[16:17], off offset:256
	;; [unrolled: 1-line block ×17, first 2 shown]
	v_bfe_u32 v4, v0, 10, 10
	v_bfe_u32 v7, v0, 20, 10
	v_mad_u32_u24 v11, v7, s4, v4
	s_lshl_b32 s0, -1, s89
	v_mov_b32_e32 v0, v5
	s_not_b32 s9, s0
	v_mov_b32_e32 v22, v5
	v_mov_b32_e32 v28, v5
	s_waitcnt lgkmcnt(0)
	s_barrier
	s_waitcnt vmcnt(18)
	; wave barrier
	v_xor_b32_e32 v7, -1, v1
	v_lshrrev_b32_sdwa v1, s88, v7 dst_sel:DWORD dst_unused:UNUSED_PAD src0_sel:DWORD src1_sel:WORD_0
	v_bitop3_b32 v13, v1, s0, v1 bitop3:0x30
	v_and_b32_e32 v4, 1, v13
	v_lshlrev_b32_e32 v1, 30, v13
	s_waitcnt vmcnt(17)
	v_mad_u64_u32 v[32:33], s[0:1], v11, v9, v[2:3]
	v_lshlrev_b32_e32 v23, 29, v13
	v_lshl_add_u64 v[38:39], v[4:5], 0, -1
	v_cmp_ne_u32_e32 vcc, 0, v4
	v_cmp_gt_i64_e64 s[0:1], 0, v[0:1]
	v_not_b32_e32 v0, v1
	v_lshlrev_b32_e32 v29, 28, v13
	v_not_b32_e32 v1, v23
	v_xor_b32_e32 v14, vcc_lo, v38
	v_ashrrev_i32_e32 v0, 31, v0
	v_cmp_gt_i64_e64 s[4:5], 0, v[22:23]
	v_not_b32_e32 v4, v29
	v_ashrrev_i32_e32 v1, 31, v1
	v_and_b32_e32 v14, exec_lo, v14
	v_xor_b32_e32 v16, s1, v0
	v_xor_b32_e32 v0, s0, v0
	v_cmp_gt_i64_e64 s[6:7], 0, v[28:29]
	v_xor_b32_e32 v11, vcc_hi, v39
	v_ashrrev_i32_e32 v4, 31, v4
	v_xor_b32_e32 v18, s5, v1
	v_xor_b32_e32 v1, s4, v1
	v_and_b32_e32 v0, v14, v0
	v_lshlrev_b32_e32 v17, 27, v13
	v_and_b32_e32 v11, exec_hi, v11
	v_xor_b32_e32 v22, s7, v4
	v_xor_b32_e32 v4, s6, v4
	v_and_b32_e32 v0, v0, v1
	v_and_b32_e32 v11, v11, v16
	;; [unrolled: 1-line block ×3, first 2 shown]
	v_mov_b32_e32 v16, v5
	v_not_b32_e32 v4, v17
	v_and_b32_e32 v11, v11, v18
	v_cmp_gt_i64_e32 vcc, 0, v[16:17]
	v_ashrrev_i32_e32 v4, 31, v4
	v_and_b32_e32 v1, v11, v22
	v_xor_b32_e32 v11, vcc_hi, v4
	v_xor_b32_e32 v4, vcc_lo, v4
	v_and_b32_e32 v11, v1, v11
	v_and_b32_e32 v4, v0, v4
	v_lshlrev_b32_e32 v1, 26, v13
	v_mov_b32_e32 v0, v5
	v_cmp_gt_i64_e32 vcc, 0, v[0:1]
	v_not_b32_e32 v0, v1
	v_ashrrev_i32_e32 v0, 31, v0
	v_xor_b32_e32 v1, vcc_hi, v0
	v_xor_b32_e32 v0, vcc_lo, v0
	v_and_b32_e32 v11, v11, v1
	v_and_b32_e32 v4, v4, v0
	v_lshlrev_b32_e32 v1, 25, v13
	v_mov_b32_e32 v0, v5
	v_cmp_gt_i64_e32 vcc, 0, v[0:1]
	v_not_b32_e32 v0, v1
	v_ashrrev_i32_e32 v0, 31, v0
	;; [unrolled: 9-line block ×3, first 2 shown]
	v_xor_b32_e32 v1, vcc_hi, v0
	v_xor_b32_e32 v0, vcc_lo, v0
	v_and_b32_e32 v0, v4, v0
	v_and_b32_e32 v1, v11, v1
	v_mbcnt_lo_u32_b32 v4, v0, 0
	v_lshrrev_b32_e32 v9, 6, v32
	v_mbcnt_hi_u32_b32 v11, v1, v4
	v_lshlrev_b32_e32 v20, 2, v9
	v_cmp_eq_u32_e32 vcc, 0, v11
	v_cmp_ne_u64_e64 s[0:1], 0, v[0:1]
	v_mad_u32_u24 v9, v13, 20, v20
	s_and_b64 s[4:5], s[0:1], vcc
	s_and_saveexec_b64 s[0:1], s[4:5]
; %bb.220:
	v_bcnt_u32_b32 v0, v0, 0
	v_bcnt_u32_b32 v0, v1, v0
	ds_write_b32 v9, v0 offset:16
; %bb.221:
	s_or_b64 exec, exec, s[0:1]
	s_waitcnt vmcnt(16)
	v_xor_b32_e32 v10, -1, v10
	v_lshrrev_b32_sdwa v0, s88, v10 dst_sel:DWORD dst_unused:UNUSED_PAD src0_sel:DWORD src1_sel:WORD_0
	v_and_b32_e32 v16, s9, v0
	v_and_b32_e32 v4, 1, v16
	v_lshl_add_u64 v[0:1], v[4:5], 0, -1
	v_cmp_ne_u32_e32 vcc, 0, v4
	v_mad_u32_u24 v14, v16, 20, v20
	s_nop 0
	v_xor_b32_e32 v1, vcc_hi, v1
	v_xor_b32_e32 v0, vcc_lo, v0
	v_and_b32_e32 v4, exec_hi, v1
	v_and_b32_e32 v17, exec_lo, v0
	v_lshlrev_b32_e32 v1, 30, v16
	v_mov_b32_e32 v0, v5
	v_cmp_gt_i64_e32 vcc, 0, v[0:1]
	v_not_b32_e32 v0, v1
	v_ashrrev_i32_e32 v0, 31, v0
	v_xor_b32_e32 v1, vcc_hi, v0
	v_xor_b32_e32 v0, vcc_lo, v0
	v_and_b32_e32 v4, v4, v1
	v_and_b32_e32 v17, v17, v0
	v_lshlrev_b32_e32 v1, 29, v16
	v_mov_b32_e32 v0, v5
	v_cmp_gt_i64_e32 vcc, 0, v[0:1]
	v_not_b32_e32 v0, v1
	v_ashrrev_i32_e32 v0, 31, v0
	v_xor_b32_e32 v1, vcc_hi, v0
	v_xor_b32_e32 v0, vcc_lo, v0
	v_and_b32_e32 v4, v4, v1
	v_and_b32_e32 v17, v17, v0
	;; [unrolled: 9-line block ×6, first 2 shown]
	v_lshlrev_b32_e32 v1, 24, v16
	v_mov_b32_e32 v0, v5
	v_cmp_gt_i64_e32 vcc, 0, v[0:1]
	v_not_b32_e32 v0, v1
	v_ashrrev_i32_e32 v0, 31, v0
	v_xor_b32_e32 v1, vcc_hi, v0
	v_xor_b32_e32 v0, vcc_lo, v0
	; wave barrier
	ds_read_b32 v13, v14 offset:16
	v_and_b32_e32 v0, v17, v0
	v_and_b32_e32 v1, v4, v1
	v_mbcnt_lo_u32_b32 v4, v0, 0
	v_mbcnt_hi_u32_b32 v16, v1, v4
	v_cmp_eq_u32_e32 vcc, 0, v16
	v_cmp_ne_u64_e64 s[0:1], 0, v[0:1]
	s_and_b64 s[4:5], s[0:1], vcc
	; wave barrier
	s_and_saveexec_b64 s[0:1], s[4:5]
	s_cbranch_execz .LBB15_223
; %bb.222:
	v_bcnt_u32_b32 v0, v0, 0
	v_bcnt_u32_b32 v0, v1, v0
	s_waitcnt lgkmcnt(0)
	v_add_u32_e32 v0, v13, v0
	ds_write_b32 v14, v0 offset:16
.LBB15_223:
	s_or_b64 exec, exec, s[0:1]
	s_waitcnt vmcnt(15)
	v_xor_b32_e32 v15, -1, v15
	v_lshrrev_b32_sdwa v0, s88, v15 dst_sel:DWORD dst_unused:UNUSED_PAD src0_sel:DWORD src1_sel:WORD_0
	v_and_b32_e32 v22, s9, v0
	v_and_b32_e32 v0, 1, v22
	v_mov_b32_e32 v1, 0
	v_lshl_add_u64 v[4:5], v[0:1], 0, -1
	v_cmp_ne_u32_e32 vcc, 0, v0
	v_mad_u32_u24 v18, v22, 20, v20
	s_nop 0
	v_xor_b32_e32 v4, vcc_lo, v4
	v_xor_b32_e32 v0, vcc_hi, v5
	v_and_b32_e32 v23, exec_lo, v4
	v_lshlrev_b32_e32 v5, 30, v22
	v_mov_b32_e32 v4, v1
	v_cmp_gt_i64_e32 vcc, 0, v[4:5]
	v_not_b32_e32 v4, v5
	v_ashrrev_i32_e32 v4, 31, v4
	v_and_b32_e32 v0, exec_hi, v0
	v_xor_b32_e32 v5, vcc_hi, v4
	v_xor_b32_e32 v4, vcc_lo, v4
	v_and_b32_e32 v0, v0, v5
	v_and_b32_e32 v23, v23, v4
	v_lshlrev_b32_e32 v5, 29, v22
	v_mov_b32_e32 v4, v1
	v_cmp_gt_i64_e32 vcc, 0, v[4:5]
	v_not_b32_e32 v4, v5
	v_ashrrev_i32_e32 v4, 31, v4
	v_xor_b32_e32 v5, vcc_hi, v4
	v_xor_b32_e32 v4, vcc_lo, v4
	v_and_b32_e32 v0, v0, v5
	v_and_b32_e32 v23, v23, v4
	v_lshlrev_b32_e32 v5, 28, v22
	v_mov_b32_e32 v4, v1
	v_cmp_gt_i64_e32 vcc, 0, v[4:5]
	v_not_b32_e32 v4, v5
	v_ashrrev_i32_e32 v4, 31, v4
	v_xor_b32_e32 v5, vcc_hi, v4
	v_xor_b32_e32 v4, vcc_lo, v4
	v_and_b32_e32 v0, v0, v5
	v_and_b32_e32 v23, v23, v4
	v_lshlrev_b32_e32 v5, 27, v22
	v_mov_b32_e32 v4, v1
	v_cmp_gt_i64_e32 vcc, 0, v[4:5]
	v_not_b32_e32 v4, v5
	v_ashrrev_i32_e32 v4, 31, v4
	v_xor_b32_e32 v5, vcc_hi, v4
	v_xor_b32_e32 v4, vcc_lo, v4
	v_and_b32_e32 v0, v0, v5
	v_and_b32_e32 v23, v23, v4
	v_lshlrev_b32_e32 v5, 26, v22
	v_mov_b32_e32 v4, v1
	v_cmp_gt_i64_e32 vcc, 0, v[4:5]
	v_not_b32_e32 v4, v5
	v_ashrrev_i32_e32 v4, 31, v4
	v_xor_b32_e32 v5, vcc_hi, v4
	v_xor_b32_e32 v4, vcc_lo, v4
	v_and_b32_e32 v0, v0, v5
	v_and_b32_e32 v23, v23, v4
	v_lshlrev_b32_e32 v5, 25, v22
	v_mov_b32_e32 v4, v1
	v_cmp_gt_i64_e32 vcc, 0, v[4:5]
	v_not_b32_e32 v4, v5
	v_ashrrev_i32_e32 v4, 31, v4
	v_xor_b32_e32 v5, vcc_hi, v4
	v_xor_b32_e32 v4, vcc_lo, v4
	v_and_b32_e32 v0, v0, v5
	v_and_b32_e32 v23, v23, v4
	v_lshlrev_b32_e32 v5, 24, v22
	v_mov_b32_e32 v4, v1
	v_cmp_gt_i64_e32 vcc, 0, v[4:5]
	v_not_b32_e32 v4, v5
	v_ashrrev_i32_e32 v4, 31, v4
	v_xor_b32_e32 v5, vcc_hi, v4
	v_xor_b32_e32 v4, vcc_lo, v4
	; wave barrier
	ds_read_b32 v17, v18 offset:16
	v_and_b32_e32 v4, v23, v4
	v_and_b32_e32 v5, v0, v5
	v_mbcnt_lo_u32_b32 v0, v4, 0
	v_mbcnt_hi_u32_b32 v22, v5, v0
	v_cmp_eq_u32_e32 vcc, 0, v22
	v_cmp_ne_u64_e64 s[0:1], 0, v[4:5]
	s_and_b64 s[4:5], s[0:1], vcc
	; wave barrier
	s_and_saveexec_b64 s[0:1], s[4:5]
	s_cbranch_execz .LBB15_225
; %bb.224:
	v_bcnt_u32_b32 v0, v4, 0
	v_bcnt_u32_b32 v0, v5, v0
	s_waitcnt lgkmcnt(0)
	v_add_u32_e32 v0, v17, v0
	ds_write_b32 v18, v0 offset:16
.LBB15_225:
	s_or_b64 exec, exec, s[0:1]
	s_waitcnt vmcnt(14)
	v_xor_b32_e32 v21, -1, v21
	v_lshrrev_b32_sdwa v0, s88, v21 dst_sel:DWORD dst_unused:UNUSED_PAD src0_sel:DWORD src1_sel:WORD_0
	v_and_b32_e32 v27, s9, v0
	v_and_b32_e32 v0, 1, v27
	v_lshl_add_u64 v[4:5], v[0:1], 0, -1
	v_cmp_ne_u32_e32 vcc, 0, v0
	v_mad_u32_u24 v24, v27, 20, v20
	s_nop 0
	v_xor_b32_e32 v4, vcc_lo, v4
	v_xor_b32_e32 v0, vcc_hi, v5
	v_and_b32_e32 v28, exec_lo, v4
	v_lshlrev_b32_e32 v5, 30, v27
	v_mov_b32_e32 v4, v1
	v_cmp_gt_i64_e32 vcc, 0, v[4:5]
	v_not_b32_e32 v4, v5
	v_ashrrev_i32_e32 v4, 31, v4
	v_and_b32_e32 v0, exec_hi, v0
	v_xor_b32_e32 v5, vcc_hi, v4
	v_xor_b32_e32 v4, vcc_lo, v4
	v_and_b32_e32 v0, v0, v5
	v_and_b32_e32 v28, v28, v4
	v_lshlrev_b32_e32 v5, 29, v27
	v_mov_b32_e32 v4, v1
	v_cmp_gt_i64_e32 vcc, 0, v[4:5]
	v_not_b32_e32 v4, v5
	v_ashrrev_i32_e32 v4, 31, v4
	v_xor_b32_e32 v5, vcc_hi, v4
	v_xor_b32_e32 v4, vcc_lo, v4
	v_and_b32_e32 v0, v0, v5
	v_and_b32_e32 v28, v28, v4
	v_lshlrev_b32_e32 v5, 28, v27
	v_mov_b32_e32 v4, v1
	v_cmp_gt_i64_e32 vcc, 0, v[4:5]
	v_not_b32_e32 v4, v5
	v_ashrrev_i32_e32 v4, 31, v4
	;; [unrolled: 9-line block ×5, first 2 shown]
	v_xor_b32_e32 v5, vcc_hi, v4
	v_xor_b32_e32 v4, vcc_lo, v4
	v_and_b32_e32 v0, v0, v5
	v_lshlrev_b32_e32 v5, 24, v27
	v_and_b32_e32 v28, v28, v4
	v_mov_b32_e32 v4, v1
	v_not_b32_e32 v1, v5
	v_cmp_gt_i64_e32 vcc, 0, v[4:5]
	v_ashrrev_i32_e32 v1, 31, v1
	; wave barrier
	s_nop 0
	v_xor_b32_e32 v4, vcc_hi, v1
	v_xor_b32_e32 v5, vcc_lo, v1
	ds_read_b32 v23, v24 offset:16
	v_and_b32_e32 v1, v0, v4
	v_and_b32_e32 v0, v28, v5
	v_mbcnt_lo_u32_b32 v4, v0, 0
	v_mbcnt_hi_u32_b32 v27, v1, v4
	v_cmp_eq_u32_e32 vcc, 0, v27
	v_cmp_ne_u64_e64 s[0:1], 0, v[0:1]
	s_and_b64 s[4:5], s[0:1], vcc
	; wave barrier
	s_and_saveexec_b64 s[0:1], s[4:5]
	s_cbranch_execz .LBB15_227
; %bb.226:
	v_bcnt_u32_b32 v0, v0, 0
	v_bcnt_u32_b32 v0, v1, v0
	s_waitcnt lgkmcnt(0)
	v_add_u32_e32 v0, v23, v0
	ds_write_b32 v24, v0 offset:16
.LBB15_227:
	s_or_b64 exec, exec, s[0:1]
	s_waitcnt vmcnt(13)
	v_xor_b32_e32 v26, -1, v26
	v_lshrrev_b32_sdwa v0, s88, v26 dst_sel:DWORD dst_unused:UNUSED_PAD src0_sel:DWORD src1_sel:WORD_0
	v_and_b32_e32 v32, s9, v0
	v_and_b32_e32 v0, 1, v32
	v_mov_b32_e32 v1, 0
	v_lshl_add_u64 v[4:5], v[0:1], 0, -1
	v_cmp_ne_u32_e32 vcc, 0, v0
	v_mad_u32_u24 v29, v32, 20, v20
	s_nop 0
	v_xor_b32_e32 v4, vcc_lo, v4
	v_xor_b32_e32 v0, vcc_hi, v5
	v_and_b32_e32 v33, exec_lo, v4
	v_lshlrev_b32_e32 v5, 30, v32
	v_mov_b32_e32 v4, v1
	v_cmp_gt_i64_e32 vcc, 0, v[4:5]
	v_not_b32_e32 v4, v5
	v_ashrrev_i32_e32 v4, 31, v4
	v_and_b32_e32 v0, exec_hi, v0
	v_xor_b32_e32 v5, vcc_hi, v4
	v_xor_b32_e32 v4, vcc_lo, v4
	v_and_b32_e32 v0, v0, v5
	v_and_b32_e32 v33, v33, v4
	v_lshlrev_b32_e32 v5, 29, v32
	v_mov_b32_e32 v4, v1
	v_cmp_gt_i64_e32 vcc, 0, v[4:5]
	v_not_b32_e32 v4, v5
	v_ashrrev_i32_e32 v4, 31, v4
	v_xor_b32_e32 v5, vcc_hi, v4
	v_xor_b32_e32 v4, vcc_lo, v4
	v_and_b32_e32 v0, v0, v5
	v_and_b32_e32 v33, v33, v4
	v_lshlrev_b32_e32 v5, 28, v32
	v_mov_b32_e32 v4, v1
	v_cmp_gt_i64_e32 vcc, 0, v[4:5]
	v_not_b32_e32 v4, v5
	v_ashrrev_i32_e32 v4, 31, v4
	;; [unrolled: 9-line block ×6, first 2 shown]
	v_xor_b32_e32 v5, vcc_hi, v4
	v_xor_b32_e32 v4, vcc_lo, v4
	; wave barrier
	ds_read_b32 v28, v29 offset:16
	v_and_b32_e32 v4, v33, v4
	v_and_b32_e32 v5, v0, v5
	v_mbcnt_lo_u32_b32 v0, v4, 0
	v_mbcnt_hi_u32_b32 v32, v5, v0
	v_cmp_eq_u32_e32 vcc, 0, v32
	v_cmp_ne_u64_e64 s[0:1], 0, v[4:5]
	s_and_b64 s[4:5], s[0:1], vcc
	; wave barrier
	s_and_saveexec_b64 s[0:1], s[4:5]
	s_cbranch_execz .LBB15_229
; %bb.228:
	v_bcnt_u32_b32 v0, v4, 0
	v_bcnt_u32_b32 v0, v5, v0
	s_waitcnt lgkmcnt(0)
	v_add_u32_e32 v0, v28, v0
	ds_write_b32 v29, v0 offset:16
.LBB15_229:
	s_or_b64 exec, exec, s[0:1]
	s_waitcnt vmcnt(12)
	v_xor_b32_e32 v31, -1, v31
	v_lshrrev_b32_sdwa v0, s88, v31 dst_sel:DWORD dst_unused:UNUSED_PAD src0_sel:DWORD src1_sel:WORD_0
	v_and_b32_e32 v37, s9, v0
	v_and_b32_e32 v0, 1, v37
	v_lshl_add_u64 v[4:5], v[0:1], 0, -1
	v_cmp_ne_u32_e32 vcc, 0, v0
	v_mad_u32_u24 v34, v37, 20, v20
	s_nop 0
	v_xor_b32_e32 v4, vcc_lo, v4
	v_xor_b32_e32 v0, vcc_hi, v5
	v_and_b32_e32 v38, exec_lo, v4
	v_lshlrev_b32_e32 v5, 30, v37
	v_mov_b32_e32 v4, v1
	v_cmp_gt_i64_e32 vcc, 0, v[4:5]
	v_not_b32_e32 v4, v5
	v_ashrrev_i32_e32 v4, 31, v4
	v_and_b32_e32 v0, exec_hi, v0
	v_xor_b32_e32 v5, vcc_hi, v4
	v_xor_b32_e32 v4, vcc_lo, v4
	v_and_b32_e32 v0, v0, v5
	v_and_b32_e32 v38, v38, v4
	v_lshlrev_b32_e32 v5, 29, v37
	v_mov_b32_e32 v4, v1
	v_cmp_gt_i64_e32 vcc, 0, v[4:5]
	v_not_b32_e32 v4, v5
	v_ashrrev_i32_e32 v4, 31, v4
	v_xor_b32_e32 v5, vcc_hi, v4
	v_xor_b32_e32 v4, vcc_lo, v4
	v_and_b32_e32 v0, v0, v5
	v_and_b32_e32 v38, v38, v4
	v_lshlrev_b32_e32 v5, 28, v37
	v_mov_b32_e32 v4, v1
	v_cmp_gt_i64_e32 vcc, 0, v[4:5]
	v_not_b32_e32 v4, v5
	v_ashrrev_i32_e32 v4, 31, v4
	v_xor_b32_e32 v5, vcc_hi, v4
	v_xor_b32_e32 v4, vcc_lo, v4
	v_and_b32_e32 v0, v0, v5
	v_and_b32_e32 v38, v38, v4
	v_lshlrev_b32_e32 v5, 27, v37
	v_mov_b32_e32 v4, v1
	v_cmp_gt_i64_e32 vcc, 0, v[4:5]
	v_not_b32_e32 v4, v5
	v_ashrrev_i32_e32 v4, 31, v4
	v_xor_b32_e32 v5, vcc_hi, v4
	v_xor_b32_e32 v4, vcc_lo, v4
	v_and_b32_e32 v0, v0, v5
	v_and_b32_e32 v38, v38, v4
	v_lshlrev_b32_e32 v5, 26, v37
	v_mov_b32_e32 v4, v1
	v_cmp_gt_i64_e32 vcc, 0, v[4:5]
	v_not_b32_e32 v4, v5
	v_ashrrev_i32_e32 v4, 31, v4
	v_xor_b32_e32 v5, vcc_hi, v4
	v_xor_b32_e32 v4, vcc_lo, v4
	v_and_b32_e32 v0, v0, v5
	v_and_b32_e32 v38, v38, v4
	v_lshlrev_b32_e32 v5, 25, v37
	v_mov_b32_e32 v4, v1
	v_cmp_gt_i64_e32 vcc, 0, v[4:5]
	v_not_b32_e32 v4, v5
	v_ashrrev_i32_e32 v4, 31, v4
	v_xor_b32_e32 v5, vcc_hi, v4
	v_xor_b32_e32 v4, vcc_lo, v4
	v_and_b32_e32 v0, v0, v5
	v_lshlrev_b32_e32 v5, 24, v37
	v_and_b32_e32 v38, v38, v4
	v_mov_b32_e32 v4, v1
	v_not_b32_e32 v1, v5
	v_cmp_gt_i64_e32 vcc, 0, v[4:5]
	v_ashrrev_i32_e32 v1, 31, v1
	; wave barrier
	s_nop 0
	v_xor_b32_e32 v4, vcc_hi, v1
	v_xor_b32_e32 v5, vcc_lo, v1
	ds_read_b32 v33, v34 offset:16
	v_and_b32_e32 v1, v0, v4
	v_and_b32_e32 v0, v38, v5
	v_mbcnt_lo_u32_b32 v4, v0, 0
	v_mbcnt_hi_u32_b32 v37, v1, v4
	v_cmp_eq_u32_e32 vcc, 0, v37
	v_cmp_ne_u64_e64 s[0:1], 0, v[0:1]
	s_and_b64 s[4:5], s[0:1], vcc
	; wave barrier
	s_and_saveexec_b64 s[0:1], s[4:5]
	s_cbranch_execz .LBB15_231
; %bb.230:
	v_bcnt_u32_b32 v0, v0, 0
	v_bcnt_u32_b32 v0, v1, v0
	s_waitcnt lgkmcnt(0)
	v_add_u32_e32 v0, v33, v0
	ds_write_b32 v34, v0 offset:16
.LBB15_231:
	s_or_b64 exec, exec, s[0:1]
	s_waitcnt vmcnt(11)
	v_xor_b32_e32 v36, -1, v36
	v_lshrrev_b32_sdwa v0, s88, v36 dst_sel:DWORD dst_unused:UNUSED_PAD src0_sel:DWORD src1_sel:WORD_0
	v_and_b32_e32 v42, s9, v0
	v_and_b32_e32 v0, 1, v42
	v_mov_b32_e32 v1, 0
	v_lshl_add_u64 v[4:5], v[0:1], 0, -1
	v_cmp_ne_u32_e32 vcc, 0, v0
	v_mad_u32_u24 v39, v42, 20, v20
	s_nop 0
	v_xor_b32_e32 v4, vcc_lo, v4
	v_xor_b32_e32 v0, vcc_hi, v5
	v_and_b32_e32 v43, exec_lo, v4
	v_lshlrev_b32_e32 v5, 30, v42
	v_mov_b32_e32 v4, v1
	v_cmp_gt_i64_e32 vcc, 0, v[4:5]
	v_not_b32_e32 v4, v5
	v_ashrrev_i32_e32 v4, 31, v4
	v_and_b32_e32 v0, exec_hi, v0
	v_xor_b32_e32 v5, vcc_hi, v4
	v_xor_b32_e32 v4, vcc_lo, v4
	v_and_b32_e32 v0, v0, v5
	v_and_b32_e32 v43, v43, v4
	v_lshlrev_b32_e32 v5, 29, v42
	v_mov_b32_e32 v4, v1
	v_cmp_gt_i64_e32 vcc, 0, v[4:5]
	v_not_b32_e32 v4, v5
	v_ashrrev_i32_e32 v4, 31, v4
	v_xor_b32_e32 v5, vcc_hi, v4
	v_xor_b32_e32 v4, vcc_lo, v4
	v_and_b32_e32 v0, v0, v5
	v_and_b32_e32 v43, v43, v4
	v_lshlrev_b32_e32 v5, 28, v42
	v_mov_b32_e32 v4, v1
	v_cmp_gt_i64_e32 vcc, 0, v[4:5]
	v_not_b32_e32 v4, v5
	v_ashrrev_i32_e32 v4, 31, v4
	;; [unrolled: 9-line block ×6, first 2 shown]
	v_xor_b32_e32 v5, vcc_hi, v4
	v_xor_b32_e32 v4, vcc_lo, v4
	; wave barrier
	ds_read_b32 v38, v39 offset:16
	v_and_b32_e32 v4, v43, v4
	v_and_b32_e32 v5, v0, v5
	v_mbcnt_lo_u32_b32 v0, v4, 0
	v_mbcnt_hi_u32_b32 v42, v5, v0
	v_cmp_eq_u32_e32 vcc, 0, v42
	v_cmp_ne_u64_e64 s[0:1], 0, v[4:5]
	s_and_b64 s[4:5], s[0:1], vcc
	; wave barrier
	s_and_saveexec_b64 s[0:1], s[4:5]
	s_cbranch_execz .LBB15_233
; %bb.232:
	v_bcnt_u32_b32 v0, v4, 0
	v_bcnt_u32_b32 v0, v5, v0
	s_waitcnt lgkmcnt(0)
	v_add_u32_e32 v0, v38, v0
	ds_write_b32 v39, v0 offset:16
.LBB15_233:
	s_or_b64 exec, exec, s[0:1]
	s_waitcnt vmcnt(10)
	v_xor_b32_e32 v41, -1, v41
	v_lshrrev_b32_sdwa v0, s88, v41 dst_sel:DWORD dst_unused:UNUSED_PAD src0_sel:DWORD src1_sel:WORD_0
	v_and_b32_e32 v47, s9, v0
	v_and_b32_e32 v0, 1, v47
	v_lshl_add_u64 v[4:5], v[0:1], 0, -1
	v_cmp_ne_u32_e32 vcc, 0, v0
	v_mad_u32_u24 v45, v47, 20, v20
	s_nop 0
	v_xor_b32_e32 v4, vcc_lo, v4
	v_xor_b32_e32 v0, vcc_hi, v5
	v_and_b32_e32 v48, exec_lo, v4
	v_lshlrev_b32_e32 v5, 30, v47
	v_mov_b32_e32 v4, v1
	v_cmp_gt_i64_e32 vcc, 0, v[4:5]
	v_not_b32_e32 v4, v5
	v_ashrrev_i32_e32 v4, 31, v4
	v_and_b32_e32 v0, exec_hi, v0
	v_xor_b32_e32 v5, vcc_hi, v4
	v_xor_b32_e32 v4, vcc_lo, v4
	v_and_b32_e32 v0, v0, v5
	v_and_b32_e32 v48, v48, v4
	v_lshlrev_b32_e32 v5, 29, v47
	v_mov_b32_e32 v4, v1
	v_cmp_gt_i64_e32 vcc, 0, v[4:5]
	v_not_b32_e32 v4, v5
	v_ashrrev_i32_e32 v4, 31, v4
	v_xor_b32_e32 v5, vcc_hi, v4
	v_xor_b32_e32 v4, vcc_lo, v4
	v_and_b32_e32 v0, v0, v5
	v_and_b32_e32 v48, v48, v4
	v_lshlrev_b32_e32 v5, 28, v47
	v_mov_b32_e32 v4, v1
	v_cmp_gt_i64_e32 vcc, 0, v[4:5]
	v_not_b32_e32 v4, v5
	v_ashrrev_i32_e32 v4, 31, v4
	;; [unrolled: 9-line block ×5, first 2 shown]
	v_xor_b32_e32 v5, vcc_hi, v4
	v_xor_b32_e32 v4, vcc_lo, v4
	v_and_b32_e32 v0, v0, v5
	v_lshlrev_b32_e32 v5, 24, v47
	v_and_b32_e32 v48, v48, v4
	v_mov_b32_e32 v4, v1
	v_not_b32_e32 v1, v5
	v_cmp_gt_i64_e32 vcc, 0, v[4:5]
	v_ashrrev_i32_e32 v1, 31, v1
	; wave barrier
	s_nop 0
	v_xor_b32_e32 v4, vcc_hi, v1
	v_xor_b32_e32 v5, vcc_lo, v1
	ds_read_b32 v43, v45 offset:16
	v_and_b32_e32 v1, v0, v4
	v_and_b32_e32 v0, v48, v5
	v_mbcnt_lo_u32_b32 v4, v0, 0
	v_mbcnt_hi_u32_b32 v47, v1, v4
	v_cmp_eq_u32_e32 vcc, 0, v47
	v_cmp_ne_u64_e64 s[0:1], 0, v[0:1]
	s_and_b64 s[4:5], s[0:1], vcc
	; wave barrier
	s_and_saveexec_b64 s[0:1], s[4:5]
	s_cbranch_execz .LBB15_235
; %bb.234:
	v_bcnt_u32_b32 v0, v0, 0
	v_bcnt_u32_b32 v0, v1, v0
	s_waitcnt lgkmcnt(0)
	v_add_u32_e32 v0, v43, v0
	ds_write_b32 v45, v0 offset:16
.LBB15_235:
	s_or_b64 exec, exec, s[0:1]
	s_waitcnt vmcnt(9)
	v_xor_b32_e32 v46, -1, v46
	v_lshrrev_b32_sdwa v0, s88, v46 dst_sel:DWORD dst_unused:UNUSED_PAD src0_sel:DWORD src1_sel:WORD_0
	v_and_b32_e32 v52, s9, v0
	v_and_b32_e32 v0, 1, v52
	v_mov_b32_e32 v1, 0
	v_lshl_add_u64 v[4:5], v[0:1], 0, -1
	v_cmp_ne_u32_e32 vcc, 0, v0
	v_mad_u32_u24 v50, v52, 20, v20
	s_nop 0
	v_xor_b32_e32 v4, vcc_lo, v4
	v_xor_b32_e32 v0, vcc_hi, v5
	v_and_b32_e32 v53, exec_lo, v4
	v_lshlrev_b32_e32 v5, 30, v52
	v_mov_b32_e32 v4, v1
	v_cmp_gt_i64_e32 vcc, 0, v[4:5]
	v_not_b32_e32 v4, v5
	v_ashrrev_i32_e32 v4, 31, v4
	v_and_b32_e32 v0, exec_hi, v0
	v_xor_b32_e32 v5, vcc_hi, v4
	v_xor_b32_e32 v4, vcc_lo, v4
	v_and_b32_e32 v0, v0, v5
	v_and_b32_e32 v53, v53, v4
	v_lshlrev_b32_e32 v5, 29, v52
	v_mov_b32_e32 v4, v1
	v_cmp_gt_i64_e32 vcc, 0, v[4:5]
	v_not_b32_e32 v4, v5
	v_ashrrev_i32_e32 v4, 31, v4
	v_xor_b32_e32 v5, vcc_hi, v4
	v_xor_b32_e32 v4, vcc_lo, v4
	v_and_b32_e32 v0, v0, v5
	v_and_b32_e32 v53, v53, v4
	v_lshlrev_b32_e32 v5, 28, v52
	v_mov_b32_e32 v4, v1
	v_cmp_gt_i64_e32 vcc, 0, v[4:5]
	v_not_b32_e32 v4, v5
	v_ashrrev_i32_e32 v4, 31, v4
	;; [unrolled: 9-line block ×6, first 2 shown]
	v_xor_b32_e32 v5, vcc_hi, v4
	v_xor_b32_e32 v4, vcc_lo, v4
	; wave barrier
	ds_read_b32 v48, v50 offset:16
	v_and_b32_e32 v4, v53, v4
	v_and_b32_e32 v5, v0, v5
	v_mbcnt_lo_u32_b32 v0, v4, 0
	v_mbcnt_hi_u32_b32 v52, v5, v0
	v_cmp_eq_u32_e32 vcc, 0, v52
	v_cmp_ne_u64_e64 s[0:1], 0, v[4:5]
	s_and_b64 s[4:5], s[0:1], vcc
	; wave barrier
	s_and_saveexec_b64 s[0:1], s[4:5]
	s_cbranch_execz .LBB15_237
; %bb.236:
	v_bcnt_u32_b32 v0, v4, 0
	v_bcnt_u32_b32 v0, v5, v0
	s_waitcnt lgkmcnt(0)
	v_add_u32_e32 v0, v48, v0
	ds_write_b32 v50, v0 offset:16
.LBB15_237:
	s_or_b64 exec, exec, s[0:1]
	s_waitcnt vmcnt(8)
	v_xor_b32_e32 v51, -1, v51
	v_lshrrev_b32_sdwa v0, s88, v51 dst_sel:DWORD dst_unused:UNUSED_PAD src0_sel:DWORD src1_sel:WORD_0
	v_and_b32_e32 v56, s9, v0
	v_and_b32_e32 v0, 1, v56
	v_lshl_add_u64 v[4:5], v[0:1], 0, -1
	v_cmp_ne_u32_e32 vcc, 0, v0
	v_mad_u32_u24 v55, v56, 20, v20
	s_nop 0
	v_xor_b32_e32 v4, vcc_lo, v4
	v_xor_b32_e32 v0, vcc_hi, v5
	v_and_b32_e32 v57, exec_lo, v4
	v_lshlrev_b32_e32 v5, 30, v56
	v_mov_b32_e32 v4, v1
	v_cmp_gt_i64_e32 vcc, 0, v[4:5]
	v_not_b32_e32 v4, v5
	v_ashrrev_i32_e32 v4, 31, v4
	v_and_b32_e32 v0, exec_hi, v0
	v_xor_b32_e32 v5, vcc_hi, v4
	v_xor_b32_e32 v4, vcc_lo, v4
	v_and_b32_e32 v0, v0, v5
	v_and_b32_e32 v57, v57, v4
	v_lshlrev_b32_e32 v5, 29, v56
	v_mov_b32_e32 v4, v1
	v_cmp_gt_i64_e32 vcc, 0, v[4:5]
	v_not_b32_e32 v4, v5
	v_ashrrev_i32_e32 v4, 31, v4
	v_xor_b32_e32 v5, vcc_hi, v4
	v_xor_b32_e32 v4, vcc_lo, v4
	v_and_b32_e32 v0, v0, v5
	v_and_b32_e32 v57, v57, v4
	v_lshlrev_b32_e32 v5, 28, v56
	v_mov_b32_e32 v4, v1
	v_cmp_gt_i64_e32 vcc, 0, v[4:5]
	v_not_b32_e32 v4, v5
	v_ashrrev_i32_e32 v4, 31, v4
	;; [unrolled: 9-line block ×5, first 2 shown]
	v_xor_b32_e32 v5, vcc_hi, v4
	v_xor_b32_e32 v4, vcc_lo, v4
	v_and_b32_e32 v0, v0, v5
	v_lshlrev_b32_e32 v5, 24, v56
	v_and_b32_e32 v57, v57, v4
	v_mov_b32_e32 v4, v1
	v_not_b32_e32 v1, v5
	v_cmp_gt_i64_e32 vcc, 0, v[4:5]
	v_ashrrev_i32_e32 v1, 31, v1
	; wave barrier
	s_nop 0
	v_xor_b32_e32 v4, vcc_hi, v1
	v_xor_b32_e32 v5, vcc_lo, v1
	ds_read_b32 v53, v55 offset:16
	v_and_b32_e32 v1, v0, v4
	v_and_b32_e32 v0, v57, v5
	v_mbcnt_lo_u32_b32 v4, v0, 0
	v_mbcnt_hi_u32_b32 v56, v1, v4
	v_cmp_eq_u32_e32 vcc, 0, v56
	v_cmp_ne_u64_e64 s[0:1], 0, v[0:1]
	s_and_b64 s[4:5], s[0:1], vcc
	; wave barrier
	s_and_saveexec_b64 s[0:1], s[4:5]
	s_cbranch_execz .LBB15_239
; %bb.238:
	v_bcnt_u32_b32 v0, v0, 0
	v_bcnt_u32_b32 v0, v1, v0
	s_waitcnt lgkmcnt(0)
	v_add_u32_e32 v0, v53, v0
	ds_write_b32 v55, v0 offset:16
.LBB15_239:
	s_or_b64 exec, exec, s[0:1]
	s_waitcnt vmcnt(7)
	v_xor_b32_e32 v54, -1, v54
	v_lshrrev_b32_sdwa v0, s88, v54 dst_sel:DWORD dst_unused:UNUSED_PAD src0_sel:DWORD src1_sel:WORD_0
	v_and_b32_e32 v59, s9, v0
	v_and_b32_e32 v0, 1, v59
	v_mov_b32_e32 v1, 0
	v_lshl_add_u64 v[4:5], v[0:1], 0, -1
	v_cmp_ne_u32_e32 vcc, 0, v0
	v_mad_u32_u24 v58, v59, 20, v20
	s_nop 0
	v_xor_b32_e32 v4, vcc_lo, v4
	v_xor_b32_e32 v0, vcc_hi, v5
	v_and_b32_e32 v60, exec_lo, v4
	v_lshlrev_b32_e32 v5, 30, v59
	v_mov_b32_e32 v4, v1
	v_cmp_gt_i64_e32 vcc, 0, v[4:5]
	v_not_b32_e32 v4, v5
	v_ashrrev_i32_e32 v4, 31, v4
	v_and_b32_e32 v0, exec_hi, v0
	v_xor_b32_e32 v5, vcc_hi, v4
	v_xor_b32_e32 v4, vcc_lo, v4
	v_and_b32_e32 v0, v0, v5
	v_and_b32_e32 v60, v60, v4
	v_lshlrev_b32_e32 v5, 29, v59
	v_mov_b32_e32 v4, v1
	v_cmp_gt_i64_e32 vcc, 0, v[4:5]
	v_not_b32_e32 v4, v5
	v_ashrrev_i32_e32 v4, 31, v4
	v_xor_b32_e32 v5, vcc_hi, v4
	v_xor_b32_e32 v4, vcc_lo, v4
	v_and_b32_e32 v0, v0, v5
	v_and_b32_e32 v60, v60, v4
	v_lshlrev_b32_e32 v5, 28, v59
	v_mov_b32_e32 v4, v1
	v_cmp_gt_i64_e32 vcc, 0, v[4:5]
	v_not_b32_e32 v4, v5
	v_ashrrev_i32_e32 v4, 31, v4
	;; [unrolled: 9-line block ×6, first 2 shown]
	v_xor_b32_e32 v5, vcc_hi, v4
	v_xor_b32_e32 v4, vcc_lo, v4
	; wave barrier
	ds_read_b32 v57, v58 offset:16
	v_and_b32_e32 v4, v60, v4
	v_and_b32_e32 v5, v0, v5
	v_mbcnt_lo_u32_b32 v0, v4, 0
	v_mbcnt_hi_u32_b32 v59, v5, v0
	v_cmp_eq_u32_e32 vcc, 0, v59
	v_cmp_ne_u64_e64 s[0:1], 0, v[4:5]
	s_and_b64 s[4:5], s[0:1], vcc
	; wave barrier
	s_and_saveexec_b64 s[0:1], s[4:5]
	s_cbranch_execz .LBB15_241
; %bb.240:
	v_bcnt_u32_b32 v0, v4, 0
	v_bcnt_u32_b32 v0, v5, v0
	s_waitcnt lgkmcnt(0)
	v_add_u32_e32 v0, v57, v0
	ds_write_b32 v58, v0 offset:16
.LBB15_241:
	s_or_b64 exec, exec, s[0:1]
	s_waitcnt vmcnt(6)
	v_xor_b32_e32 v49, -1, v49
	v_lshrrev_b32_sdwa v0, s88, v49 dst_sel:DWORD dst_unused:UNUSED_PAD src0_sel:DWORD src1_sel:WORD_0
	v_and_b32_e32 v62, s9, v0
	v_and_b32_e32 v0, 1, v62
	v_lshl_add_u64 v[4:5], v[0:1], 0, -1
	v_cmp_ne_u32_e32 vcc, 0, v0
	v_mad_u32_u24 v61, v62, 20, v20
	s_nop 0
	v_xor_b32_e32 v4, vcc_lo, v4
	v_xor_b32_e32 v0, vcc_hi, v5
	v_and_b32_e32 v63, exec_lo, v4
	v_lshlrev_b32_e32 v5, 30, v62
	v_mov_b32_e32 v4, v1
	v_cmp_gt_i64_e32 vcc, 0, v[4:5]
	v_not_b32_e32 v4, v5
	v_ashrrev_i32_e32 v4, 31, v4
	v_and_b32_e32 v0, exec_hi, v0
	v_xor_b32_e32 v5, vcc_hi, v4
	v_xor_b32_e32 v4, vcc_lo, v4
	v_and_b32_e32 v0, v0, v5
	v_and_b32_e32 v63, v63, v4
	v_lshlrev_b32_e32 v5, 29, v62
	v_mov_b32_e32 v4, v1
	v_cmp_gt_i64_e32 vcc, 0, v[4:5]
	v_not_b32_e32 v4, v5
	v_ashrrev_i32_e32 v4, 31, v4
	v_xor_b32_e32 v5, vcc_hi, v4
	v_xor_b32_e32 v4, vcc_lo, v4
	v_and_b32_e32 v0, v0, v5
	v_and_b32_e32 v63, v63, v4
	v_lshlrev_b32_e32 v5, 28, v62
	v_mov_b32_e32 v4, v1
	v_cmp_gt_i64_e32 vcc, 0, v[4:5]
	v_not_b32_e32 v4, v5
	v_ashrrev_i32_e32 v4, 31, v4
	;; [unrolled: 9-line block ×5, first 2 shown]
	v_xor_b32_e32 v5, vcc_hi, v4
	v_xor_b32_e32 v4, vcc_lo, v4
	v_and_b32_e32 v0, v0, v5
	v_lshlrev_b32_e32 v5, 24, v62
	v_and_b32_e32 v63, v63, v4
	v_mov_b32_e32 v4, v1
	v_not_b32_e32 v1, v5
	v_cmp_gt_i64_e32 vcc, 0, v[4:5]
	v_ashrrev_i32_e32 v1, 31, v1
	; wave barrier
	s_nop 0
	v_xor_b32_e32 v4, vcc_hi, v1
	v_xor_b32_e32 v5, vcc_lo, v1
	ds_read_b32 v60, v61 offset:16
	v_and_b32_e32 v1, v0, v4
	v_and_b32_e32 v0, v63, v5
	v_mbcnt_lo_u32_b32 v4, v0, 0
	v_mbcnt_hi_u32_b32 v62, v1, v4
	v_cmp_eq_u32_e32 vcc, 0, v62
	v_cmp_ne_u64_e64 s[0:1], 0, v[0:1]
	s_and_b64 s[4:5], s[0:1], vcc
	; wave barrier
	s_and_saveexec_b64 s[0:1], s[4:5]
	s_cbranch_execz .LBB15_243
; %bb.242:
	v_bcnt_u32_b32 v0, v0, 0
	v_bcnt_u32_b32 v0, v1, v0
	s_waitcnt lgkmcnt(0)
	v_add_u32_e32 v0, v60, v0
	ds_write_b32 v61, v0 offset:16
.LBB15_243:
	s_or_b64 exec, exec, s[0:1]
	s_waitcnt vmcnt(5)
	v_xor_b32_e32 v44, -1, v44
	v_lshrrev_b32_sdwa v0, s88, v44 dst_sel:DWORD dst_unused:UNUSED_PAD src0_sel:DWORD src1_sel:WORD_0
	v_and_b32_e32 v65, s9, v0
	v_and_b32_e32 v0, 1, v65
	v_mov_b32_e32 v1, 0
	v_lshl_add_u64 v[4:5], v[0:1], 0, -1
	v_cmp_ne_u32_e32 vcc, 0, v0
	v_mad_u32_u24 v64, v65, 20, v20
	s_nop 0
	v_xor_b32_e32 v4, vcc_lo, v4
	v_xor_b32_e32 v0, vcc_hi, v5
	v_and_b32_e32 v66, exec_lo, v4
	v_lshlrev_b32_e32 v5, 30, v65
	v_mov_b32_e32 v4, v1
	v_cmp_gt_i64_e32 vcc, 0, v[4:5]
	v_not_b32_e32 v4, v5
	v_ashrrev_i32_e32 v4, 31, v4
	v_and_b32_e32 v0, exec_hi, v0
	v_xor_b32_e32 v5, vcc_hi, v4
	v_xor_b32_e32 v4, vcc_lo, v4
	v_and_b32_e32 v0, v0, v5
	v_and_b32_e32 v66, v66, v4
	v_lshlrev_b32_e32 v5, 29, v65
	v_mov_b32_e32 v4, v1
	v_cmp_gt_i64_e32 vcc, 0, v[4:5]
	v_not_b32_e32 v4, v5
	v_ashrrev_i32_e32 v4, 31, v4
	v_xor_b32_e32 v5, vcc_hi, v4
	v_xor_b32_e32 v4, vcc_lo, v4
	v_and_b32_e32 v0, v0, v5
	v_and_b32_e32 v66, v66, v4
	v_lshlrev_b32_e32 v5, 28, v65
	v_mov_b32_e32 v4, v1
	v_cmp_gt_i64_e32 vcc, 0, v[4:5]
	v_not_b32_e32 v4, v5
	v_ashrrev_i32_e32 v4, 31, v4
	;; [unrolled: 9-line block ×6, first 2 shown]
	v_xor_b32_e32 v5, vcc_hi, v4
	v_xor_b32_e32 v4, vcc_lo, v4
	; wave barrier
	ds_read_b32 v63, v64 offset:16
	v_and_b32_e32 v4, v66, v4
	v_and_b32_e32 v5, v0, v5
	v_mbcnt_lo_u32_b32 v0, v4, 0
	v_mbcnt_hi_u32_b32 v65, v5, v0
	v_cmp_eq_u32_e32 vcc, 0, v65
	v_cmp_ne_u64_e64 s[0:1], 0, v[4:5]
	s_and_b64 s[4:5], s[0:1], vcc
	; wave barrier
	s_and_saveexec_b64 s[0:1], s[4:5]
	s_cbranch_execz .LBB15_245
; %bb.244:
	v_bcnt_u32_b32 v0, v4, 0
	v_bcnt_u32_b32 v0, v5, v0
	s_waitcnt lgkmcnt(0)
	v_add_u32_e32 v0, v63, v0
	ds_write_b32 v64, v0 offset:16
.LBB15_245:
	s_or_b64 exec, exec, s[0:1]
	s_waitcnt vmcnt(4)
	v_xor_b32_e32 v40, -1, v40
	v_lshrrev_b32_sdwa v0, s88, v40 dst_sel:DWORD dst_unused:UNUSED_PAD src0_sel:DWORD src1_sel:WORD_0
	v_and_b32_e32 v68, s9, v0
	v_and_b32_e32 v0, 1, v68
	v_lshl_add_u64 v[4:5], v[0:1], 0, -1
	v_cmp_ne_u32_e32 vcc, 0, v0
	v_mad_u32_u24 v67, v68, 20, v20
	s_nop 0
	v_xor_b32_e32 v4, vcc_lo, v4
	v_xor_b32_e32 v0, vcc_hi, v5
	v_and_b32_e32 v69, exec_lo, v4
	v_lshlrev_b32_e32 v5, 30, v68
	v_mov_b32_e32 v4, v1
	v_cmp_gt_i64_e32 vcc, 0, v[4:5]
	v_not_b32_e32 v4, v5
	v_ashrrev_i32_e32 v4, 31, v4
	v_and_b32_e32 v0, exec_hi, v0
	v_xor_b32_e32 v5, vcc_hi, v4
	v_xor_b32_e32 v4, vcc_lo, v4
	v_and_b32_e32 v0, v0, v5
	v_and_b32_e32 v69, v69, v4
	v_lshlrev_b32_e32 v5, 29, v68
	v_mov_b32_e32 v4, v1
	v_cmp_gt_i64_e32 vcc, 0, v[4:5]
	v_not_b32_e32 v4, v5
	v_ashrrev_i32_e32 v4, 31, v4
	v_xor_b32_e32 v5, vcc_hi, v4
	v_xor_b32_e32 v4, vcc_lo, v4
	v_and_b32_e32 v0, v0, v5
	v_and_b32_e32 v69, v69, v4
	v_lshlrev_b32_e32 v5, 28, v68
	v_mov_b32_e32 v4, v1
	v_cmp_gt_i64_e32 vcc, 0, v[4:5]
	v_not_b32_e32 v4, v5
	v_ashrrev_i32_e32 v4, 31, v4
	;; [unrolled: 9-line block ×5, first 2 shown]
	v_xor_b32_e32 v5, vcc_hi, v4
	v_xor_b32_e32 v4, vcc_lo, v4
	v_and_b32_e32 v0, v0, v5
	v_lshlrev_b32_e32 v5, 24, v68
	v_and_b32_e32 v69, v69, v4
	v_mov_b32_e32 v4, v1
	v_not_b32_e32 v1, v5
	v_cmp_gt_i64_e32 vcc, 0, v[4:5]
	v_ashrrev_i32_e32 v1, 31, v1
	; wave barrier
	s_nop 0
	v_xor_b32_e32 v4, vcc_hi, v1
	v_xor_b32_e32 v5, vcc_lo, v1
	ds_read_b32 v66, v67 offset:16
	v_and_b32_e32 v1, v0, v4
	v_and_b32_e32 v0, v69, v5
	v_mbcnt_lo_u32_b32 v4, v0, 0
	v_mbcnt_hi_u32_b32 v68, v1, v4
	v_cmp_eq_u32_e32 vcc, 0, v68
	v_cmp_ne_u64_e64 s[0:1], 0, v[0:1]
	s_and_b64 s[4:5], s[0:1], vcc
	; wave barrier
	s_and_saveexec_b64 s[0:1], s[4:5]
	s_cbranch_execz .LBB15_247
; %bb.246:
	v_bcnt_u32_b32 v0, v0, 0
	v_bcnt_u32_b32 v0, v1, v0
	s_waitcnt lgkmcnt(0)
	v_add_u32_e32 v0, v66, v0
	ds_write_b32 v67, v0 offset:16
.LBB15_247:
	s_or_b64 exec, exec, s[0:1]
	s_waitcnt vmcnt(3)
	v_xor_b32_e32 v35, -1, v35
	v_lshrrev_b32_sdwa v0, s88, v35 dst_sel:DWORD dst_unused:UNUSED_PAD src0_sel:DWORD src1_sel:WORD_0
	v_and_b32_e32 v71, s9, v0
	v_and_b32_e32 v0, 1, v71
	v_mov_b32_e32 v1, 0
	v_lshl_add_u64 v[4:5], v[0:1], 0, -1
	v_cmp_ne_u32_e32 vcc, 0, v0
	v_mad_u32_u24 v70, v71, 20, v20
	s_nop 0
	v_xor_b32_e32 v4, vcc_lo, v4
	v_xor_b32_e32 v0, vcc_hi, v5
	v_and_b32_e32 v72, exec_lo, v4
	v_lshlrev_b32_e32 v5, 30, v71
	v_mov_b32_e32 v4, v1
	v_cmp_gt_i64_e32 vcc, 0, v[4:5]
	v_not_b32_e32 v4, v5
	v_ashrrev_i32_e32 v4, 31, v4
	v_and_b32_e32 v0, exec_hi, v0
	v_xor_b32_e32 v5, vcc_hi, v4
	v_xor_b32_e32 v4, vcc_lo, v4
	v_and_b32_e32 v0, v0, v5
	v_and_b32_e32 v72, v72, v4
	v_lshlrev_b32_e32 v5, 29, v71
	v_mov_b32_e32 v4, v1
	v_cmp_gt_i64_e32 vcc, 0, v[4:5]
	v_not_b32_e32 v4, v5
	v_ashrrev_i32_e32 v4, 31, v4
	v_xor_b32_e32 v5, vcc_hi, v4
	v_xor_b32_e32 v4, vcc_lo, v4
	v_and_b32_e32 v0, v0, v5
	v_and_b32_e32 v72, v72, v4
	v_lshlrev_b32_e32 v5, 28, v71
	v_mov_b32_e32 v4, v1
	v_cmp_gt_i64_e32 vcc, 0, v[4:5]
	v_not_b32_e32 v4, v5
	v_ashrrev_i32_e32 v4, 31, v4
	;; [unrolled: 9-line block ×6, first 2 shown]
	v_xor_b32_e32 v5, vcc_hi, v4
	v_xor_b32_e32 v4, vcc_lo, v4
	; wave barrier
	ds_read_b32 v69, v70 offset:16
	v_and_b32_e32 v4, v72, v4
	v_and_b32_e32 v5, v0, v5
	v_mbcnt_lo_u32_b32 v0, v4, 0
	v_mbcnt_hi_u32_b32 v72, v5, v0
	v_cmp_eq_u32_e32 vcc, 0, v72
	v_cmp_ne_u64_e64 s[0:1], 0, v[4:5]
	s_and_b64 s[4:5], s[0:1], vcc
	; wave barrier
	s_and_saveexec_b64 s[0:1], s[4:5]
	s_cbranch_execz .LBB15_249
; %bb.248:
	v_bcnt_u32_b32 v0, v4, 0
	v_bcnt_u32_b32 v0, v5, v0
	s_waitcnt lgkmcnt(0)
	v_add_u32_e32 v0, v69, v0
	ds_write_b32 v70, v0 offset:16
.LBB15_249:
	s_or_b64 exec, exec, s[0:1]
	s_waitcnt vmcnt(2)
	v_xor_b32_e32 v71, -1, v30
	v_lshrrev_b32_sdwa v0, s88, v71 dst_sel:DWORD dst_unused:UNUSED_PAD src0_sel:DWORD src1_sel:WORD_0
	v_and_b32_e32 v74, s9, v0
	v_and_b32_e32 v0, 1, v74
	v_lshl_add_u64 v[4:5], v[0:1], 0, -1
	v_cmp_ne_u32_e32 vcc, 0, v0
	v_mad_u32_u24 v30, v74, 20, v20
	s_nop 0
	v_xor_b32_e32 v4, vcc_lo, v4
	v_xor_b32_e32 v0, vcc_hi, v5
	v_and_b32_e32 v75, exec_lo, v4
	v_lshlrev_b32_e32 v5, 30, v74
	v_mov_b32_e32 v4, v1
	v_cmp_gt_i64_e32 vcc, 0, v[4:5]
	v_not_b32_e32 v4, v5
	v_ashrrev_i32_e32 v4, 31, v4
	v_and_b32_e32 v0, exec_hi, v0
	v_xor_b32_e32 v5, vcc_hi, v4
	v_xor_b32_e32 v4, vcc_lo, v4
	v_and_b32_e32 v0, v0, v5
	v_and_b32_e32 v75, v75, v4
	v_lshlrev_b32_e32 v5, 29, v74
	v_mov_b32_e32 v4, v1
	v_cmp_gt_i64_e32 vcc, 0, v[4:5]
	v_not_b32_e32 v4, v5
	v_ashrrev_i32_e32 v4, 31, v4
	v_xor_b32_e32 v5, vcc_hi, v4
	v_xor_b32_e32 v4, vcc_lo, v4
	v_and_b32_e32 v0, v0, v5
	v_and_b32_e32 v75, v75, v4
	v_lshlrev_b32_e32 v5, 28, v74
	v_mov_b32_e32 v4, v1
	v_cmp_gt_i64_e32 vcc, 0, v[4:5]
	v_not_b32_e32 v4, v5
	v_ashrrev_i32_e32 v4, 31, v4
	;; [unrolled: 9-line block ×5, first 2 shown]
	v_xor_b32_e32 v5, vcc_hi, v4
	v_xor_b32_e32 v4, vcc_lo, v4
	v_and_b32_e32 v0, v0, v5
	v_lshlrev_b32_e32 v5, 24, v74
	v_and_b32_e32 v75, v75, v4
	v_mov_b32_e32 v4, v1
	v_not_b32_e32 v1, v5
	v_cmp_gt_i64_e32 vcc, 0, v[4:5]
	v_ashrrev_i32_e32 v1, 31, v1
	; wave barrier
	s_nop 0
	v_xor_b32_e32 v4, vcc_hi, v1
	v_xor_b32_e32 v5, vcc_lo, v1
	ds_read_b32 v73, v30 offset:16
	v_and_b32_e32 v1, v0, v4
	v_and_b32_e32 v0, v75, v5
	v_mbcnt_lo_u32_b32 v4, v0, 0
	v_mbcnt_hi_u32_b32 v75, v1, v4
	v_cmp_eq_u32_e32 vcc, 0, v75
	v_cmp_ne_u64_e64 s[0:1], 0, v[0:1]
	s_and_b64 s[4:5], s[0:1], vcc
	; wave barrier
	s_and_saveexec_b64 s[0:1], s[4:5]
	s_cbranch_execz .LBB15_251
; %bb.250:
	v_bcnt_u32_b32 v0, v0, 0
	v_bcnt_u32_b32 v0, v1, v0
	s_waitcnt lgkmcnt(0)
	v_add_u32_e32 v0, v73, v0
	ds_write_b32 v30, v0 offset:16
.LBB15_251:
	s_or_b64 exec, exec, s[0:1]
	s_waitcnt vmcnt(1)
	v_xor_b32_e32 v74, -1, v25
	v_lshrrev_b32_sdwa v0, s88, v74 dst_sel:DWORD dst_unused:UNUSED_PAD src0_sel:DWORD src1_sel:WORD_0
	v_and_b32_e32 v77, s9, v0
	v_and_b32_e32 v0, 1, v77
	v_mov_b32_e32 v1, 0
	v_lshl_add_u64 v[4:5], v[0:1], 0, -1
	v_cmp_ne_u32_e32 vcc, 0, v0
	v_mad_u32_u24 v25, v77, 20, v20
	s_nop 0
	v_xor_b32_e32 v4, vcc_lo, v4
	v_xor_b32_e32 v0, vcc_hi, v5
	v_and_b32_e32 v78, exec_lo, v4
	v_lshlrev_b32_e32 v5, 30, v77
	v_mov_b32_e32 v4, v1
	v_cmp_gt_i64_e32 vcc, 0, v[4:5]
	v_not_b32_e32 v4, v5
	v_ashrrev_i32_e32 v4, 31, v4
	v_and_b32_e32 v0, exec_hi, v0
	v_xor_b32_e32 v5, vcc_hi, v4
	v_xor_b32_e32 v4, vcc_lo, v4
	v_and_b32_e32 v0, v0, v5
	v_and_b32_e32 v78, v78, v4
	v_lshlrev_b32_e32 v5, 29, v77
	v_mov_b32_e32 v4, v1
	v_cmp_gt_i64_e32 vcc, 0, v[4:5]
	v_not_b32_e32 v4, v5
	v_ashrrev_i32_e32 v4, 31, v4
	v_xor_b32_e32 v5, vcc_hi, v4
	v_xor_b32_e32 v4, vcc_lo, v4
	v_and_b32_e32 v0, v0, v5
	v_and_b32_e32 v78, v78, v4
	v_lshlrev_b32_e32 v5, 28, v77
	v_mov_b32_e32 v4, v1
	v_cmp_gt_i64_e32 vcc, 0, v[4:5]
	v_not_b32_e32 v4, v5
	v_ashrrev_i32_e32 v4, 31, v4
	;; [unrolled: 9-line block ×6, first 2 shown]
	v_xor_b32_e32 v5, vcc_hi, v4
	v_xor_b32_e32 v4, vcc_lo, v4
	; wave barrier
	ds_read_b32 v76, v25 offset:16
	v_and_b32_e32 v4, v78, v4
	v_and_b32_e32 v5, v0, v5
	v_mbcnt_lo_u32_b32 v0, v4, 0
	v_mbcnt_hi_u32_b32 v78, v5, v0
	v_cmp_eq_u32_e32 vcc, 0, v78
	v_cmp_ne_u64_e64 s[0:1], 0, v[4:5]
	s_and_b64 s[4:5], s[0:1], vcc
	; wave barrier
	s_and_saveexec_b64 s[0:1], s[4:5]
	s_cbranch_execz .LBB15_253
; %bb.252:
	v_bcnt_u32_b32 v0, v4, 0
	v_bcnt_u32_b32 v0, v5, v0
	s_waitcnt lgkmcnt(0)
	v_add_u32_e32 v0, v76, v0
	ds_write_b32 v25, v0 offset:16
.LBB15_253:
	s_or_b64 exec, exec, s[0:1]
	s_waitcnt vmcnt(0)
	v_xor_b32_e32 v77, -1, v19
	v_lshrrev_b32_sdwa v0, s88, v77 dst_sel:DWORD dst_unused:UNUSED_PAD src0_sel:DWORD src1_sel:WORD_0
	v_and_b32_e32 v80, s9, v0
	v_and_b32_e32 v0, 1, v80
	v_lshl_add_u64 v[4:5], v[0:1], 0, -1
	v_cmp_ne_u32_e32 vcc, 0, v0
	v_mad_u32_u24 v19, v80, 20, v20
	s_nop 0
	v_xor_b32_e32 v4, vcc_lo, v4
	v_xor_b32_e32 v0, vcc_hi, v5
	v_and_b32_e32 v20, exec_lo, v4
	v_lshlrev_b32_e32 v5, 30, v80
	v_mov_b32_e32 v4, v1
	v_cmp_gt_i64_e32 vcc, 0, v[4:5]
	v_not_b32_e32 v4, v5
	v_ashrrev_i32_e32 v4, 31, v4
	v_and_b32_e32 v0, exec_hi, v0
	v_xor_b32_e32 v5, vcc_hi, v4
	v_xor_b32_e32 v4, vcc_lo, v4
	v_and_b32_e32 v0, v0, v5
	v_and_b32_e32 v20, v20, v4
	v_lshlrev_b32_e32 v5, 29, v80
	v_mov_b32_e32 v4, v1
	v_cmp_gt_i64_e32 vcc, 0, v[4:5]
	v_not_b32_e32 v4, v5
	v_ashrrev_i32_e32 v4, 31, v4
	v_xor_b32_e32 v5, vcc_hi, v4
	v_xor_b32_e32 v4, vcc_lo, v4
	v_and_b32_e32 v0, v0, v5
	v_and_b32_e32 v20, v20, v4
	v_lshlrev_b32_e32 v5, 28, v80
	v_mov_b32_e32 v4, v1
	v_cmp_gt_i64_e32 vcc, 0, v[4:5]
	v_not_b32_e32 v4, v5
	v_ashrrev_i32_e32 v4, 31, v4
	;; [unrolled: 9-line block ×5, first 2 shown]
	v_xor_b32_e32 v5, vcc_hi, v4
	v_xor_b32_e32 v4, vcc_lo, v4
	v_and_b32_e32 v0, v0, v5
	v_lshlrev_b32_e32 v5, 24, v80
	v_and_b32_e32 v20, v20, v4
	v_mov_b32_e32 v4, v1
	v_not_b32_e32 v1, v5
	v_cmp_gt_i64_e32 vcc, 0, v[4:5]
	v_ashrrev_i32_e32 v1, 31, v1
	; wave barrier
	s_nop 0
	v_xor_b32_e32 v4, vcc_hi, v1
	v_xor_b32_e32 v5, vcc_lo, v1
	ds_read_b32 v79, v19 offset:16
	v_and_b32_e32 v1, v0, v4
	v_and_b32_e32 v0, v20, v5
	v_mbcnt_lo_u32_b32 v4, v0, 0
	v_mbcnt_hi_u32_b32 v80, v1, v4
	v_cmp_eq_u32_e32 vcc, 0, v80
	v_cmp_ne_u64_e64 s[0:1], 0, v[0:1]
	s_and_b64 s[4:5], s[0:1], vcc
	; wave barrier
	s_and_saveexec_b64 s[0:1], s[4:5]
	s_cbranch_execz .LBB15_255
; %bb.254:
	v_bcnt_u32_b32 v0, v0, 0
	v_bcnt_u32_b32 v0, v1, v0
	s_waitcnt lgkmcnt(0)
	v_add_u32_e32 v0, v79, v0
	ds_write_b32 v19, v0 offset:16
.LBB15_255:
	s_or_b64 exec, exec, s[0:1]
	; wave barrier
	s_waitcnt lgkmcnt(0)
	s_barrier
	ds_read2_b32 v[4:5], v6 offset0:4 offset1:5
	ds_read2_b32 v[0:1], v6 offset0:6 offset1:7
	ds_read_b32 v20, v6 offset:32
	v_min_u32_e32 v8, 0xc0, v8
	v_or_b32_e32 v8, 63, v8
	s_waitcnt lgkmcnt(1)
	v_add3_u32 v81, v5, v4, v0
	s_waitcnt lgkmcnt(0)
	v_add3_u32 v20, v81, v1, v20
	v_and_b32_e32 v81, 15, v12
	v_cmp_ne_u32_e32 vcc, 0, v81
	v_mov_b32_dpp v82, v20 row_shr:1 row_mask:0xf bank_mask:0xf
	s_nop 0
	v_cndmask_b32_e32 v82, 0, v82, vcc
	v_add_u32_e32 v20, v82, v20
	v_cmp_lt_u32_e32 vcc, 1, v81
	s_nop 0
	v_mov_b32_dpp v82, v20 row_shr:2 row_mask:0xf bank_mask:0xf
	v_cndmask_b32_e32 v82, 0, v82, vcc
	v_add_u32_e32 v20, v20, v82
	v_cmp_lt_u32_e32 vcc, 3, v81
	s_nop 0
	v_mov_b32_dpp v82, v20 row_shr:4 row_mask:0xf bank_mask:0xf
	;; [unrolled: 5-line block ×3, first 2 shown]
	v_cndmask_b32_e32 v81, 0, v82, vcc
	v_add_u32_e32 v20, v20, v81
	v_bfe_i32 v82, v12, 4, 1
	v_cmp_lt_u32_e32 vcc, 31, v12
	v_mov_b32_dpp v81, v20 row_bcast:15 row_mask:0xf bank_mask:0xf
	v_and_b32_e32 v81, v82, v81
	v_add_u32_e32 v20, v20, v81
	s_nop 1
	v_mov_b32_dpp v81, v20 row_bcast:31 row_mask:0xf bank_mask:0xf
	v_cndmask_b32_e32 v81, 0, v81, vcc
	v_add_u32_e32 v20, v20, v81
	v_lshrrev_b32_e32 v81, 6, v2
	v_cmp_eq_u32_e32 vcc, v2, v8
	s_and_saveexec_b64 s[0:1], vcc
; %bb.256:
	v_lshlrev_b32_e32 v8, 2, v81
	ds_write_b32 v8, v20
; %bb.257:
	s_or_b64 exec, exec, s[0:1]
	v_cmp_gt_u32_e32 vcc, 4, v2
	s_waitcnt lgkmcnt(0)
	s_barrier
	s_and_saveexec_b64 s[0:1], vcc
	s_cbranch_execz .LBB15_259
; %bb.258:
	v_lshlrev_b32_e32 v8, 2, v2
	ds_read_b32 v82, v8
	v_and_b32_e32 v83, 3, v12
	v_cmp_ne_u32_e32 vcc, 0, v83
	s_waitcnt lgkmcnt(0)
	v_mov_b32_dpp v84, v82 row_shr:1 row_mask:0xf bank_mask:0xf
	v_cndmask_b32_e32 v84, 0, v84, vcc
	v_add_u32_e32 v82, v84, v82
	v_cmp_lt_u32_e32 vcc, 1, v83
	s_nop 0
	v_mov_b32_dpp v84, v82 row_shr:2 row_mask:0xf bank_mask:0xf
	v_cndmask_b32_e32 v83, 0, v84, vcc
	v_add_u32_e32 v82, v82, v83
	ds_write_b32 v8, v82
.LBB15_259:
	s_or_b64 exec, exec, s[0:1]
	v_cmp_lt_u32_e32 vcc, 63, v2
	v_mov_b32_e32 v8, 0
	s_waitcnt lgkmcnt(0)
	s_barrier
	s_and_saveexec_b64 s[0:1], vcc
; %bb.260:
	v_lshl_add_u32 v8, v81, 2, -4
	ds_read_b32 v8, v8
; %bb.261:
	s_or_b64 exec, exec, s[0:1]
	v_add_u32_e32 v81, -1, v12
	v_and_b32_e32 v82, 64, v12
	v_cmp_lt_i32_e32 vcc, v81, v82
	s_waitcnt lgkmcnt(0)
	v_add_u32_e32 v20, v8, v20
	s_movk_i32 s0, 0x100
	v_cndmask_b32_e32 v81, v81, v12, vcc
	v_lshlrev_b32_e32 v81, 2, v81
	ds_bpermute_b32 v20, v81, v20
	v_cmp_eq_u32_e32 vcc, 0, v12
	s_waitcnt lgkmcnt(0)
	s_nop 0
	v_cndmask_b32_e32 v8, v20, v8, vcc
	v_cmp_ne_u32_e32 vcc, 0, v2
	s_nop 1
	v_cndmask_b32_e32 v8, 0, v8, vcc
	v_add_u32_e32 v4, v8, v4
	v_add_u32_e32 v5, v4, v5
	;; [unrolled: 1-line block ×4, first 2 shown]
	ds_write2_b32 v6, v8, v4 offset0:4 offset1:5
	ds_write2_b32 v6, v5, v0 offset0:6 offset1:7
	ds_write_b32 v6, v1 offset:32
	s_waitcnt lgkmcnt(0)
	s_barrier
	ds_read_b32 v4, v45 offset:16
	ds_read_b32 v5, v50 offset:16
	ds_read_b32 v8, v55 offset:16
	ds_read_b32 v20, v58 offset:16
	ds_read_b32 v45, v61 offset:16
	ds_read_b32 v50, v64 offset:16
	ds_read_b32 v55, v67 offset:16
	ds_read_b32 v58, v70 offset:16
	ds_read_b32 v61, v30 offset:16
	ds_read_b32 v64, v25 offset:16
	ds_read_b32 v67, v19 offset:16
	ds_read_b32 v9, v9 offset:16
	ds_read_b32 v14, v14 offset:16
	ds_read_b32 v18, v18 offset:16
	ds_read_b32 v19, v24 offset:16
	ds_read_b32 v24, v29 offset:16
	ds_read_b32 v25, v34 offset:16
	ds_read_b32 v70, v39 offset:16
	ds_read_b32 v0, v6 offset:16
	v_add_u32_e32 v6, 1, v2
	v_cmp_ne_u32_e32 vcc, s0, v6
	v_mov_b32_e32 v1, 0x1200
	s_and_saveexec_b64 s[0:1], vcc
; %bb.262:
	v_mul_u32_u24_e32 v1, 20, v6
	ds_read_b32 v1, v1 offset:16
; %bb.263:
	s_or_b64 exec, exec, s[0:1]
	s_waitcnt lgkmcnt(7)
	v_add_u32_e32 v39, v9, v11
	s_waitcnt lgkmcnt(6)
	v_add3_u32 v34, v16, v13, v14
	s_waitcnt lgkmcnt(3)
	v_add3_u32 v28, v32, v28, v24
	v_add3_u32 v24, v47, v43, v4
	v_lshlrev_b32_e32 v4, 1, v39
	v_add3_u32 v30, v22, v17, v18
	s_waitcnt lgkmcnt(0)
	s_barrier
	ds_write_b16 v4, v7 offset:2048
	v_lshlrev_b32_e32 v4, 1, v34
	v_add3_u32 v29, v27, v23, v19
	ds_write_b16 v4, v10 offset:2048
	v_lshlrev_b32_e32 v4, 1, v30
	ds_write_b16 v4, v15 offset:2048
	v_lshlrev_b32_e32 v4, 1, v29
	v_add3_u32 v27, v37, v33, v25
	ds_write_b16 v4, v21 offset:2048
	v_lshlrev_b32_e32 v4, 1, v28
	v_add3_u32 v25, v42, v38, v70
	ds_write_b16 v4, v26 offset:2048
	v_lshlrev_b32_e32 v4, 1, v27
	ds_write_b16 v4, v31 offset:2048
	v_lshlrev_b32_e32 v4, 1, v25
	v_add3_u32 v23, v52, v48, v5
	ds_write_b16 v4, v36 offset:2048
	v_lshlrev_b32_e32 v4, 1, v24
	v_add3_u32 v22, v56, v53, v8
	;; [unrolled: 3-line block ×10, first 2 shown]
	ds_write_b16 v4, v71 offset:2048
	v_lshlrev_b32_e32 v4, 1, v13
	ds_write_b16 v4, v74 offset:2048
	v_lshlrev_b32_e32 v4, 1, v5
	ds_write_b16 v4, v77 offset:2048
	v_sub_u32_e32 v4, v1, v0
	v_lshl_add_u32 v6, s2, 8, v2
	v_mov_b32_e32 v7, 0
	v_lshl_add_u64 v[8:9], v[6:7], 2, s[94:95]
	v_or_b32_e32 v1, 2.0, v4
	s_mov_b64 s[0:1], 0
	s_brev_b32 s10, -4
	v_mov_b32_e32 v15, 0
	s_waitcnt lgkmcnt(0)
	s_barrier
	global_store_dword v[8:9], v1, off sc1
                                        ; implicit-def: $sgpr4_sgpr5
	s_branch .LBB15_266
.LBB15_264:                             ;   in Loop: Header=BB15_266 Depth=1
	s_or_b64 exec, exec, s[6:7]
.LBB15_265:                             ;   in Loop: Header=BB15_266 Depth=1
	s_or_b64 exec, exec, s[4:5]
	v_and_b32_e32 v6, 0x3fffffff, v1
	v_add_u32_e32 v15, v6, v15
	v_cmp_gt_i32_e64 s[4:5], -2.0, v1
	s_and_b64 s[6:7], exec, s[4:5]
	s_or_b64 s[0:1], s[6:7], s[0:1]
	s_andn2_b64 exec, exec, s[0:1]
	s_cbranch_execz .LBB15_271
.LBB15_266:                             ; =>This Loop Header: Depth=1
                                        ;     Child Loop BB15_269 Depth 2
	s_or_b64 s[4:5], s[4:5], exec
	s_cmp_eq_u32 s3, 0
	s_cbranch_scc1 .LBB15_270
; %bb.267:                              ;   in Loop: Header=BB15_266 Depth=1
	s_add_i32 s3, s3, -1
	v_lshl_add_u32 v6, s3, 8, v2
	v_lshl_add_u64 v[10:11], v[6:7], 2, s[94:95]
	global_load_dword v1, v[10:11], off sc1
	s_waitcnt vmcnt(0)
	v_cmp_gt_u32_e32 vcc, 2.0, v1
	s_and_saveexec_b64 s[4:5], vcc
	s_cbranch_execz .LBB15_265
; %bb.268:                              ;   in Loop: Header=BB15_266 Depth=1
	s_mov_b64 s[6:7], 0
.LBB15_269:                             ;   Parent Loop BB15_266 Depth=1
                                        ; =>  This Inner Loop Header: Depth=2
	global_load_dword v1, v[10:11], off sc1
	s_waitcnt vmcnt(0)
	v_cmp_lt_u32_e32 vcc, s10, v1
	s_or_b64 s[6:7], vcc, s[6:7]
	s_andn2_b64 exec, exec, s[6:7]
	s_cbranch_execnz .LBB15_269
	s_branch .LBB15_264
.LBB15_270:                             ;   in Loop: Header=BB15_266 Depth=1
                                        ; implicit-def: $sgpr3
	s_and_b64 s[6:7], exec, s[4:5]
	s_or_b64 s[0:1], s[6:7], s[0:1]
	s_andn2_b64 exec, exec, s[0:1]
	s_cbranch_execnz .LBB15_266
.LBB15_271:
	s_or_b64 exec, exec, s[0:1]
	v_add_u32_e32 v1, v15, v4
	v_or_b32_e32 v1, 0x80000000, v1
	v_lshlrev_b32_e32 v6, 3, v2
	global_store_dword v[8:9], v1, off sc1
	global_load_dwordx2 v[10:11], v6, s[84:85]
	v_sub_co_u32_e32 v32, vcc, v15, v0
	v_mad_i32_i24 v15, v2, -6, v6
	s_nop 0
	v_subb_co_u32_e64 v33, s[0:1], 0, 0, vcc
	v_mov_b32_e32 v1, 0
	v_lshlrev_b32_e32 v8, 1, v2
	v_mov_b32_e32 v9, v1
	v_or_b32_e32 v93, 0xc00, v2
	s_lshl_b64 s[0:1], s[92:93], 3
	s_add_u32 s0, s80, s0
	s_addc_u32 s1, s81, s1
	s_movk_i32 s3, 0x1000
	v_add_u32_e32 v94, 0xd00, v2
	v_lshlrev_b32_e32 v60, 1, v94
	v_mov_b32_e32 v61, v1
	v_add_u32_e32 v95, 0xe00, v2
	v_lshlrev_b32_e32 v76, 1, v95
	v_mov_b32_e32 v77, v1
	v_mov_b32_e32 v7, v1
	s_add_i32 s8, s8, -1
	s_cmp_lg_u32 s2, s8
	s_waitcnt vmcnt(0)
	v_lshl_add_u64 v[10:11], v[32:33], 0, v[10:11]
	ds_write_b64 v6, v[10:11]
	s_waitcnt lgkmcnt(0)
	s_barrier
	ds_read_u16 v10, v15 offset:2048
	ds_read_u16 v11, v15 offset:2560
	;; [unrolled: 1-line block ×16, first 2 shown]
	s_waitcnt lgkmcnt(14)
	v_lshrrev_b32_sdwa v36, s88, v10 dst_sel:DWORD dst_unused:UNUSED_PAD src0_sel:DWORD src1_sel:WORD_0
	v_xor_b32_e32 v53, -1, v10
	v_lshrrev_b32_sdwa v10, s88, v11 dst_sel:DWORD dst_unused:UNUSED_PAD src0_sel:DWORD src1_sel:WORD_0
	v_xor_b32_e32 v54, -1, v11
	s_waitcnt lgkmcnt(13)
	v_lshrrev_b32_sdwa v11, s88, v21 dst_sel:DWORD dst_unused:UNUSED_PAD src0_sel:DWORD src1_sel:WORD_0
	s_waitcnt lgkmcnt(12)
	v_lshrrev_b32_sdwa v37, s88, v26 dst_sel:DWORD dst_unused:UNUSED_PAD src0_sel:DWORD src1_sel:WORD_0
	;; [unrolled: 2-line block ×4, first 2 shown]
	v_xor_b32_e32 v55, -1, v32
	s_waitcnt lgkmcnt(9)
	v_lshrrev_b32_sdwa v32, s88, v33 dst_sel:DWORD dst_unused:UNUSED_PAD src0_sel:DWORD src1_sel:WORD_0
	v_xor_b32_e32 v56, -1, v33
	s_waitcnt lgkmcnt(8)
	v_lshrrev_b32_sdwa v33, s88, v35 dst_sel:DWORD dst_unused:UNUSED_PAD src0_sel:DWORD src1_sel:WORD_0
	s_waitcnt lgkmcnt(7)
	v_lshrrev_b32_sdwa v42, s88, v38 dst_sel:DWORD dst_unused:UNUSED_PAD src0_sel:DWORD src1_sel:WORD_0
	;; [unrolled: 2-line block ×3, first 2 shown]
	v_and_b32_e32 v36, s9, v36
	v_and_b32_e32 v10, s9, v10
	;; [unrolled: 1-line block ×10, first 2 shown]
	v_lshlrev_b32_e32 v79, 3, v36
	v_lshlrev_b32_e32 v80, 3, v10
	v_lshlrev_b32_e32 v81, 3, v11
	v_lshlrev_b32_e32 v82, 3, v37
	v_lshlrev_b32_e32 v83, 3, v40
	v_lshlrev_b32_e32 v84, 3, v41
	v_lshlrev_b32_e32 v85, 3, v32
	v_lshlrev_b32_e32 v86, 3, v33
	v_lshlrev_b32_e32 v87, 3, v42
	v_lshlrev_b32_e32 v88, 3, v43
	ds_read_b64 v[10:11], v79
	ds_read_b64 v[32:33], v80
	;; [unrolled: 1-line block ×7, first 2 shown]
	ds_read_u16 v89, v15 offset:10240
	ds_read_u16 v15, v15 offset:10752
	s_waitcnt lgkmcnt(8)
	v_lshl_add_u64 v[10:11], v[10:11], 1, s[78:79]
	s_waitcnt lgkmcnt(7)
	v_lshl_add_u64 v[32:33], v[32:33], 1, s[78:79]
	;; [unrolled: 2-line block ×6, first 2 shown]
	v_lshl_add_u64 v[10:11], v[10:11], 0, v[8:9]
	v_xor_b32_e32 v21, -1, v21
	v_xor_b32_e32 v26, -1, v26
	;; [unrolled: 1-line block ×3, first 2 shown]
	v_lshl_add_u64 v[32:33], v[32:33], 0, v[8:9]
	v_lshl_add_u64 v[36:37], v[36:37], 0, v[8:9]
	;; [unrolled: 1-line block ×5, first 2 shown]
	global_store_short v[10:11], v53, off
	global_store_short v[32:33], v54, off offset:512
	global_store_short v[36:37], v21, off offset:1024
	;; [unrolled: 1-line block ×5, first 2 shown]
	ds_read_b64 v[10:11], v86
	ds_read_b64 v[32:33], v87
	;; [unrolled: 1-line block ×3, first 2 shown]
	s_waitcnt lgkmcnt(5)
	v_lshl_add_u64 v[40:41], v[46:47], 1, s[78:79]
	v_lshl_add_u64 v[40:41], v[40:41], 0, v[8:9]
	s_waitcnt lgkmcnt(2)
	v_lshl_add_u64 v[10:11], v[10:11], 1, s[78:79]
	v_xor_b32_e32 v21, -1, v35
	v_lshl_add_u64 v[8:9], v[10:11], 0, v[8:9]
	global_store_short v[40:41], v56, off offset:3072
	global_store_short v[8:9], v21, off offset:3584
	v_or_b32_e32 v21, 0x800, v2
	s_waitcnt lgkmcnt(1)
	v_lshl_add_u64 v[8:9], v[32:33], 1, s[78:79]
	v_lshlrev_b32_e32 v10, 1, v21
	v_mov_b32_e32 v11, v1
	v_xor_b32_e32 v26, -1, v38
	v_lshl_add_u64 v[8:9], v[8:9], 0, v[10:11]
	global_store_short v[8:9], v26, off
	v_add_u32_e32 v26, 0x900, v2
	s_waitcnt lgkmcnt(0)
	v_lshl_add_u64 v[8:9], v[36:37], 1, s[78:79]
	v_lshlrev_b32_e32 v10, 1, v26
	v_xor_b32_e32 v31, -1, v48
	v_lshl_add_u64 v[8:9], v[8:9], 0, v[10:11]
	global_store_short v[8:9], v31, off
	v_lshrrev_b32_sdwa v8, s88, v49 dst_sel:DWORD dst_unused:UNUSED_PAD src0_sel:DWORD src1_sel:WORD_0
	v_and_b32_e32 v8, s9, v8
	v_lshlrev_b32_e32 v38, 3, v8
	v_lshrrev_b32_sdwa v10, s88, v50 dst_sel:DWORD dst_unused:UNUSED_PAD src0_sel:DWORD src1_sel:WORD_0
	ds_read_b64 v[8:9], v38
	v_and_b32_e32 v10, s9, v10
	v_lshlrev_b32_e32 v90, 3, v10
	v_lshrrev_b32_sdwa v10, s88, v51 dst_sel:DWORD dst_unused:UNUSED_PAD src0_sel:DWORD src1_sel:WORD_0
	v_and_b32_e32 v10, s9, v10
	v_lshlrev_b32_e32 v91, 3, v10
	v_lshrrev_b32_sdwa v10, s88, v52 dst_sel:DWORD dst_unused:UNUSED_PAD src0_sel:DWORD src1_sel:WORD_0
	v_add_u32_e32 v31, 0xa00, v2
	v_and_b32_e32 v10, s9, v10
	v_lshlrev_b32_e32 v92, 3, v10
	ds_read_b64 v[10:11], v90
	ds_read_b64 v[32:33], v91
	;; [unrolled: 1-line block ×3, first 2 shown]
	s_waitcnt lgkmcnt(3)
	v_lshl_add_u64 v[8:9], v[8:9], 1, s[78:79]
	v_lshlrev_b32_e32 v40, 1, v31
	v_mov_b32_e32 v41, v1
	v_xor_b32_e32 v35, -1, v49
	v_lshl_add_u64 v[8:9], v[8:9], 0, v[40:41]
	global_store_short v[8:9], v35, off
	v_add_u32_e32 v35, 0xb00, v2
	s_waitcnt lgkmcnt(2)
	v_lshl_add_u64 v[8:9], v[10:11], 1, s[78:79]
	v_lshlrev_b32_e32 v10, 1, v35
	v_mov_b32_e32 v11, v1
	v_xor_b32_e32 v40, -1, v50
	v_lshl_add_u64 v[8:9], v[8:9], 0, v[10:11]
	global_store_short v[8:9], v40, off
	s_waitcnt lgkmcnt(1)
	v_lshl_add_u64 v[8:9], v[32:33], 1, s[78:79]
	v_lshlrev_b32_e32 v10, 1, v93
	v_xor_b32_e32 v40, -1, v51
	v_lshl_add_u64 v[8:9], v[8:9], 0, v[10:11]
	global_store_short v[8:9], v40, off
	v_lshlrev_b32_e32 v8, 3, v12
	v_mov_b32_e32 v9, v1
	v_lshl_add_u64 v[8:9], s[0:1], 0, v[8:9]
	v_lshlrev_b32_e32 v10, 3, v3
	v_lshl_add_u64 v[8:9], v[8:9], 0, v[10:11]
	s_movk_i32 s0, 0x2000
	v_xor_b32_e32 v66, -1, v52
	v_add_co_u32_e32 v52, vcc, s0, v8
	global_load_dwordx2 v[10:11], v[8:9], off
	global_load_dwordx2 v[32:33], v[8:9], off offset:512
	global_load_dwordx2 v[40:41], v[8:9], off offset:1024
	;; [unrolled: 1-line block ×7, first 2 shown]
	v_addc_co_u32_e32 v53, vcc, 0, v9, vcc
	v_add_co_u32_e32 v8, vcc, s3, v8
	global_load_dwordx2 v[54:55], v[52:53], off offset:-4096
	s_nop 0
	v_addc_co_u32_e32 v9, vcc, 0, v9, vcc
	global_load_dwordx2 v[56:57], v[8:9], off offset:512
	global_load_dwordx2 v[58:59], v[8:9], off offset:1024
	;; [unrolled: 1-line block ×4, first 2 shown]
	s_waitcnt lgkmcnt(0)
	v_lshl_add_u64 v[36:37], v[36:37], 1, s[78:79]
	v_lshl_add_u64 v[36:37], v[36:37], 0, v[60:61]
	global_load_dwordx2 v[60:61], v[8:9], off offset:2560
	v_lshrrev_b32_sdwa v3, s88, v68 dst_sel:DWORD dst_unused:UNUSED_PAD src0_sel:DWORD src1_sel:WORD_0
	global_store_short v[36:37], v66, off
	global_load_dwordx2 v[36:37], v[8:9], off offset:3072
	v_and_b32_e32 v3, s9, v3
	global_load_dwordx2 v[8:9], v[8:9], off offset:3584
	v_lshlrev_b32_e32 v96, 3, v3
	global_load_dwordx2 v[66:67], v[52:53], off
	v_lshrrev_b32_sdwa v3, s88, v78 dst_sel:DWORD dst_unused:UNUSED_PAD src0_sel:DWORD src1_sel:WORD_0
	global_load_dwordx2 v[52:53], v[52:53], off offset:512
	v_and_b32_e32 v3, s9, v3
	v_xor_b32_e32 v12, -1, v68
	ds_read_b64 v[68:69], v96
	v_lshlrev_b32_e32 v97, 3, v3
	v_lshrrev_b32_sdwa v3, s88, v89 dst_sel:DWORD dst_unused:UNUSED_PAD src0_sel:DWORD src1_sel:WORD_0
	v_and_b32_e32 v3, s9, v3
	v_lshlrev_b32_e32 v98, 3, v3
	v_lshrrev_b32_sdwa v3, s88, v15 dst_sel:DWORD dst_unused:UNUSED_PAD src0_sel:DWORD src1_sel:WORD_0
	v_and_b32_e32 v3, s9, v3
	v_lshlrev_b32_e32 v99, 3, v3
	ds_read_b64 v[70:71], v97
	ds_read_b64 v[72:73], v98
	ds_read_b64 v[74:75], v99
	s_waitcnt lgkmcnt(3)
	v_lshl_add_u64 v[68:69], v[68:69], 1, s[78:79]
	v_lshl_add_u64 v[68:69], v[68:69], 0, v[76:77]
	v_add_u32_e32 v76, 0xf00, v2
	global_store_short v[68:69], v12, off
	s_waitcnt lgkmcnt(2)
	v_lshl_add_u64 v[68:69], v[70:71], 1, s[78:79]
	v_lshlrev_b32_e32 v70, 1, v76
	v_mov_b32_e32 v71, v1
	v_xor_b32_e32 v3, -1, v78
	v_lshl_add_u64 v[68:69], v[68:69], 0, v[70:71]
	v_or_b32_e32 v77, 0x1000, v2
	global_store_short v[68:69], v3, off
	s_waitcnt lgkmcnt(1)
	v_lshl_add_u64 v[68:69], v[72:73], 1, s[78:79]
	v_lshlrev_b32_e32 v70, 1, v77
	v_xor_b32_e32 v3, -1, v89
	v_lshl_add_u64 v[68:69], v[68:69], 0, v[70:71]
	v_add_u32_e32 v70, 0x1100, v2
	global_store_short v[68:69], v3, off
	s_waitcnt lgkmcnt(0)
	v_lshl_add_u64 v[2:3], v[74:75], 1, s[78:79]
	v_lshlrev_b32_e32 v68, 1, v70
	v_mov_b32_e32 v69, v1
	v_xor_b32_e32 v12, -1, v15
	v_lshl_add_u64 v[2:3], v[2:3], 0, v[68:69]
	global_store_short v[2:3], v12, off
	v_lshlrev_b32_e32 v2, 3, v39
	s_barrier
	s_waitcnt vmcnt(22)
	ds_write_b64 v2, v[10:11] offset:2048
	v_lshlrev_b32_e32 v2, 3, v34
	s_waitcnt vmcnt(21)
	ds_write_b64 v2, v[32:33] offset:2048
	v_lshlrev_b32_e32 v2, 3, v30
	;; [unrolled: 3-line block ×17, first 2 shown]
	s_waitcnt vmcnt(4)
	ds_write_b64 v2, v[52:53] offset:2048
	s_waitcnt lgkmcnt(0)
	s_barrier
	ds_read_b64 v[2:3], v79
	ds_read2st64_b64 v[8:11], v6 offset0:4 offset1:8
	ds_read_b64 v[12:13], v80
	ds_read_b64 v[14:15], v81
	;; [unrolled: 1-line block ×3, first 2 shown]
	s_waitcnt lgkmcnt(4)
	v_lshl_add_u64 v[2:3], v[2:3], 3, s[82:83]
	v_lshl_add_u64 v[2:3], v[2:3], 0, v[6:7]
	s_waitcnt lgkmcnt(3)
	global_store_dwordx2 v[2:3], v[8:9], off
	s_waitcnt lgkmcnt(2)
	v_lshl_add_u64 v[2:3], v[12:13], 3, s[82:83]
	v_lshl_add_u64 v[2:3], v[2:3], 0, v[6:7]
	global_store_dwordx2 v[2:3], v[10:11], off offset:2048
	ds_read2st64_b64 v[8:11], v6 offset0:12 offset1:16
	s_waitcnt lgkmcnt(2)
	v_lshl_add_u64 v[2:3], v[14:15], 3, s[82:83]
	v_add_u32_e32 v12, 0x1000, v6
	v_mov_b32_e32 v13, v1
	v_lshl_add_u64 v[2:3], v[2:3], 0, v[12:13]
	s_waitcnt lgkmcnt(0)
	global_store_dwordx2 v[2:3], v[8:9], off
	v_lshl_add_u64 v[2:3], v[16:17], 3, s[82:83]
	v_add_u32_e32 v8, 0x1800, v6
	v_mov_b32_e32 v9, v1
	v_lshl_add_u64 v[2:3], v[2:3], 0, v[8:9]
	global_store_dwordx2 v[2:3], v[10:11], off
	ds_read_b64 v[2:3], v83
	ds_read2st64_b64 v[8:11], v6 offset0:20 offset1:24
	ds_read_b64 v[12:13], v84
	ds_read_b64 v[14:15], v85
	;; [unrolled: 1-line block ×3, first 2 shown]
	s_waitcnt lgkmcnt(4)
	v_lshl_add_u64 v[2:3], v[2:3], 3, s[82:83]
	v_or_b32_e32 v18, 0x2000, v6
	v_mov_b32_e32 v19, v1
	v_lshl_add_u64 v[2:3], v[2:3], 0, v[18:19]
	s_waitcnt lgkmcnt(3)
	global_store_dwordx2 v[2:3], v[8:9], off
	s_waitcnt lgkmcnt(2)
	v_lshl_add_u64 v[2:3], v[12:13], 3, s[82:83]
	v_add_u32_e32 v8, 0x2800, v6
	v_mov_b32_e32 v9, v1
	v_lshl_add_u64 v[2:3], v[2:3], 0, v[8:9]
	global_store_dwordx2 v[2:3], v[10:11], off
	ds_read2st64_b64 v[8:11], v6 offset0:28 offset1:32
	s_waitcnt lgkmcnt(2)
	v_lshl_add_u64 v[2:3], v[14:15], 3, s[82:83]
	v_add_u32_e32 v12, 0x3000, v6
	v_mov_b32_e32 v13, v1
	v_lshl_add_u64 v[2:3], v[2:3], 0, v[12:13]
	s_waitcnt lgkmcnt(0)
	global_store_dwordx2 v[2:3], v[8:9], off
	v_lshl_add_u64 v[2:3], v[16:17], 3, s[82:83]
	v_add_u32_e32 v8, 0x3800, v6
	v_mov_b32_e32 v9, v1
	v_lshl_add_u64 v[2:3], v[2:3], 0, v[8:9]
	global_store_dwordx2 v[2:3], v[10:11], off
	ds_read_b64 v[2:3], v87
	ds_read2st64_b64 v[8:11], v6 offset0:36 offset1:40
	ds_read_b64 v[12:13], v88
	ds_read_b64 v[14:15], v38
	;; [unrolled: 1-line block ×3, first 2 shown]
	s_waitcnt lgkmcnt(4)
	v_lshl_add_u64 v[2:3], v[2:3], 3, s[82:83]
	v_lshlrev_b32_e32 v18, 3, v21
	v_lshl_add_u64 v[2:3], v[2:3], 0, v[18:19]
	s_waitcnt lgkmcnt(3)
	global_store_dwordx2 v[2:3], v[8:9], off
	s_waitcnt lgkmcnt(2)
	v_lshl_add_u64 v[2:3], v[12:13], 3, s[82:83]
	v_lshlrev_b32_e32 v8, 3, v26
	v_mov_b32_e32 v9, v1
	v_lshl_add_u64 v[2:3], v[2:3], 0, v[8:9]
	global_store_dwordx2 v[2:3], v[10:11], off
	ds_read2st64_b64 v[8:11], v6 offset0:44 offset1:48
	s_waitcnt lgkmcnt(2)
	v_lshl_add_u64 v[2:3], v[14:15], 3, s[82:83]
	v_lshlrev_b32_e32 v12, 3, v31
	v_mov_b32_e32 v13, v1
	v_lshl_add_u64 v[2:3], v[2:3], 0, v[12:13]
	s_waitcnt lgkmcnt(0)
	global_store_dwordx2 v[2:3], v[8:9], off
	v_lshl_add_u64 v[2:3], v[16:17], 3, s[82:83]
	v_lshlrev_b32_e32 v8, 3, v35
	v_mov_b32_e32 v9, v1
	v_lshl_add_u64 v[2:3], v[2:3], 0, v[8:9]
	global_store_dwordx2 v[2:3], v[10:11], off
	ds_read_b64 v[2:3], v91
	ds_read2st64_b64 v[8:11], v6 offset0:52 offset1:56
	ds_read_b64 v[12:13], v92
	ds_read_b64 v[14:15], v96
	;; [unrolled: 1-line block ×3, first 2 shown]
	s_waitcnt lgkmcnt(4)
	v_lshl_add_u64 v[2:3], v[2:3], 3, s[82:83]
	v_lshlrev_b32_e32 v18, 3, v93
	v_lshl_add_u64 v[2:3], v[2:3], 0, v[18:19]
	s_waitcnt lgkmcnt(3)
	global_store_dwordx2 v[2:3], v[8:9], off
	s_waitcnt lgkmcnt(2)
	v_lshl_add_u64 v[2:3], v[12:13], 3, s[82:83]
	v_lshlrev_b32_e32 v8, 3, v94
	v_mov_b32_e32 v9, v1
	v_lshl_add_u64 v[2:3], v[2:3], 0, v[8:9]
	global_store_dwordx2 v[2:3], v[10:11], off
	ds_read2st64_b64 v[8:11], v6 offset0:60 offset1:64
	s_waitcnt lgkmcnt(2)
	v_lshl_add_u64 v[2:3], v[14:15], 3, s[82:83]
	v_lshlrev_b32_e32 v12, 3, v95
	v_mov_b32_e32 v13, v1
	v_lshl_add_u64 v[2:3], v[2:3], 0, v[12:13]
	s_waitcnt lgkmcnt(0)
	global_store_dwordx2 v[2:3], v[8:9], off
	v_lshl_add_u64 v[2:3], v[16:17], 3, s[82:83]
	v_lshlrev_b32_e32 v8, 3, v76
	v_mov_b32_e32 v9, v1
	ds_read_b64 v[12:13], v98
	v_lshl_add_u64 v[2:3], v[2:3], 0, v[8:9]
	global_store_dwordx2 v[2:3], v[10:11], off
	ds_read2st64_b64 v[8:11], v6 offset0:68 offset1:72
	ds_read_b64 v[2:3], v99
	v_lshlrev_b32_e32 v14, 3, v77
	s_waitcnt lgkmcnt(2)
	v_lshl_add_u64 v[12:13], v[12:13], 3, s[82:83]
	v_mov_b32_e32 v15, v1
	v_lshl_add_u64 v[12:13], v[12:13], 0, v[14:15]
	s_waitcnt lgkmcnt(1)
	global_store_dwordx2 v[12:13], v[8:9], off
	s_waitcnt lgkmcnt(0)
	v_lshl_add_u64 v[2:3], v[2:3], 3, s[82:83]
	v_lshlrev_b32_e32 v8, 3, v70
	v_mov_b32_e32 v9, v1
	v_lshl_add_u64 v[2:3], v[2:3], 0, v[8:9]
	global_store_dwordx2 v[2:3], v[10:11], off
	s_cbranch_scc1 .LBB15_273
; %bb.272:
	ds_read_b64 v[2:3], v6
	v_mov_b32_e32 v5, v1
	v_lshl_add_u64 v[0:1], v[4:5], 0, v[0:1]
	s_waitcnt lgkmcnt(0)
	v_lshl_add_u64 v[0:1], v[0:1], 0, v[2:3]
	global_store_dwordx2 v6, v[0:1], s[86:87]
.LBB15_273:
	s_endpgm
.LBB15_274:
	s_or_b64 exec, exec, s[4:5]
	s_and_saveexec_b64 s[4:5], s[40:41]
	s_cbranch_execz .LBB15_199
.LBB15_275:
	v_lshlrev_b32_e32 v2, 3, v56
	ds_read_b64 v[28:29], v2
	ds_read_b64 v[30:31], v8 offset:4096
	v_mov_b32_e32 v9, 0
	s_waitcnt lgkmcnt(1)
	v_lshl_add_u64 v[28:29], v[28:29], 3, s[82:83]
	v_lshl_add_u64 v[28:29], v[28:29], 0, v[8:9]
	s_waitcnt lgkmcnt(0)
	global_store_dwordx2 v[28:29], v[30:31], off offset:2048
	s_or_b64 exec, exec, s[4:5]
	s_and_saveexec_b64 s[4:5], s[42:43]
	s_cbranch_execnz .LBB15_200
.LBB15_276:
	s_or_b64 exec, exec, s[4:5]
	s_and_saveexec_b64 s[4:5], s[44:45]
	s_cbranch_execz .LBB15_201
.LBB15_277:
	v_lshlrev_b32_e32 v2, 3, v54
	ds_read_b64 v[28:29], v2
	ds_read_b64 v[30:31], v8 offset:8192
	v_lshlrev_b32_e32 v12, 3, v13
	v_mov_b32_e32 v13, 0
	s_waitcnt lgkmcnt(1)
	v_lshl_add_u64 v[28:29], v[28:29], 3, s[82:83]
	v_lshl_add_u64 v[12:13], v[28:29], 0, v[12:13]
	s_waitcnt lgkmcnt(0)
	global_store_dwordx2 v[12:13], v[30:31], off
	s_or_b64 exec, exec, s[4:5]
	s_and_saveexec_b64 s[4:5], s[46:47]
	s_cbranch_execnz .LBB15_202
.LBB15_278:
	s_or_b64 exec, exec, s[4:5]
	s_and_saveexec_b64 s[4:5], s[48:49]
	s_cbranch_execz .LBB15_203
.LBB15_279:
	v_lshlrev_b32_e32 v2, 3, v52
	ds_read_b64 v[12:13], v2
	ds_read_b64 v[28:29], v8 offset:12288
	v_lshlrev_b32_e32 v30, 3, v16
	v_mov_b32_e32 v31, 0
	s_waitcnt lgkmcnt(1)
	v_lshl_add_u64 v[12:13], v[12:13], 3, s[82:83]
	v_lshl_add_u64 v[12:13], v[12:13], 0, v[30:31]
	s_waitcnt lgkmcnt(0)
	global_store_dwordx2 v[12:13], v[28:29], off
	s_or_b64 exec, exec, s[4:5]
	s_and_saveexec_b64 s[4:5], s[50:51]
	s_cbranch_execnz .LBB15_204
.LBB15_280:
	s_or_b64 exec, exec, s[4:5]
	s_and_saveexec_b64 s[4:5], s[52:53]
	s_cbranch_execz .LBB15_205
.LBB15_281:
	v_lshlrev_b32_e32 v2, 3, v50
	ds_read_b64 v[12:13], v2
	ds_read_b64 v[16:17], v8 offset:16384
	v_lshlrev_b32_e32 v18, 3, v18
	v_mov_b32_e32 v19, 0
	s_waitcnt lgkmcnt(1)
	v_lshl_add_u64 v[12:13], v[12:13], 3, s[82:83]
	v_lshl_add_u64 v[12:13], v[12:13], 0, v[18:19]
	s_waitcnt lgkmcnt(0)
	global_store_dwordx2 v[12:13], v[16:17], off
	s_or_b64 exec, exec, s[4:5]
	s_and_saveexec_b64 s[4:5], s[54:55]
	s_cbranch_execnz .LBB15_206
.LBB15_282:
	s_or_b64 exec, exec, s[4:5]
	s_and_saveexec_b64 s[4:5], s[56:57]
	s_cbranch_execz .LBB15_207
.LBB15_283:
	v_lshlrev_b32_e32 v2, 3, v47
	ds_read_b64 v[12:13], v2
	ds_read_b64 v[16:17], v8 offset:20480
	v_lshlrev_b32_e32 v18, 3, v21
	v_mov_b32_e32 v19, 0
	s_waitcnt lgkmcnt(1)
	v_lshl_add_u64 v[12:13], v[12:13], 3, s[82:83]
	v_lshl_add_u64 v[12:13], v[12:13], 0, v[18:19]
	s_waitcnt lgkmcnt(0)
	global_store_dwordx2 v[12:13], v[16:17], off
	s_or_b64 exec, exec, s[4:5]
	s_and_saveexec_b64 s[4:5], s[58:59]
	s_cbranch_execnz .LBB15_208
.LBB15_284:
	s_or_b64 exec, exec, s[4:5]
	s_and_saveexec_b64 s[4:5], s[60:61]
	s_cbranch_execz .LBB15_209
.LBB15_285:
	v_lshlrev_b32_e32 v2, 3, v44
	ds_read_b64 v[12:13], v2
	ds_read_b64 v[16:17], v8 offset:24576
	v_lshlrev_b32_e32 v18, 3, v23
	v_mov_b32_e32 v19, 0
	s_waitcnt lgkmcnt(1)
	v_lshl_add_u64 v[12:13], v[12:13], 3, s[82:83]
	v_lshl_add_u64 v[12:13], v[12:13], 0, v[18:19]
	s_waitcnt lgkmcnt(0)
	global_store_dwordx2 v[12:13], v[16:17], off
	s_or_b64 exec, exec, s[4:5]
	s_and_saveexec_b64 s[4:5], s[62:63]
	s_cbranch_execnz .LBB15_210
.LBB15_286:
	s_or_b64 exec, exec, s[4:5]
	s_and_saveexec_b64 s[4:5], s[64:65]
	s_cbranch_execz .LBB15_211
.LBB15_287:
	v_lshlrev_b32_e32 v2, 3, v11
	ds_read_b64 v[12:13], v2
	ds_read_b64 v[16:17], v8 offset:28672
	v_lshlrev_b32_e32 v18, 3, v25
	v_mov_b32_e32 v19, 0
	s_waitcnt lgkmcnt(1)
	v_lshl_add_u64 v[12:13], v[12:13], 3, s[82:83]
	v_lshl_add_u64 v[12:13], v[12:13], 0, v[18:19]
	s_waitcnt lgkmcnt(0)
	global_store_dwordx2 v[12:13], v[16:17], off
	s_or_b64 exec, exec, s[4:5]
	s_and_saveexec_b64 s[4:5], s[66:67]
	s_cbranch_execnz .LBB15_212
.LBB15_288:
	s_or_b64 exec, exec, s[4:5]
	s_and_saveexec_b64 s[4:5], s[68:69]
	s_cbranch_execz .LBB15_213
.LBB15_289:
	v_lshlrev_b32_e32 v2, 3, v10
	ds_read_b64 v[10:11], v2
	ds_read_b64 v[12:13], v8 offset:32768
	v_lshlrev_b32_e32 v16, 3, v27
	v_mov_b32_e32 v17, 0
	s_waitcnt lgkmcnt(1)
	v_lshl_add_u64 v[10:11], v[10:11], 3, s[82:83]
	v_lshl_add_u64 v[10:11], v[10:11], 0, v[16:17]
	s_waitcnt lgkmcnt(0)
	global_store_dwordx2 v[10:11], v[12:13], off
	s_or_b64 exec, exec, s[4:5]
	s_and_saveexec_b64 s[4:5], s[70:71]
	s_cbranch_execnz .LBB15_214
.LBB15_290:
	s_or_b64 exec, exec, s[4:5]
	s_and_saveexec_b64 s[4:5], s[72:73]
	s_cbranch_execz .LBB15_215
.LBB15_291:
	v_lshlrev_b32_e32 v2, 3, v3
	ds_read_b64 v[2:3], v2
	ds_read_b64 v[10:11], v8 offset:36864
	v_lshlrev_b32_e32 v12, 3, v43
	v_mov_b32_e32 v13, 0
	s_waitcnt lgkmcnt(1)
	v_lshl_add_u64 v[2:3], v[2:3], 3, s[82:83]
	v_lshl_add_u64 v[2:3], v[2:3], 0, v[12:13]
	s_waitcnt lgkmcnt(0)
	global_store_dwordx2 v[2:3], v[10:11], off
	s_or_b64 exec, exec, s[4:5]
	s_add_i32 s33, s33, -1
	s_cmp_eq_u32 s2, s33
	s_cbranch_scc1 .LBB15_216
	s_branch .LBB15_217
	.section	.rodata,"a",@progbits
	.p2align	6, 0x0
	.amdhsa_kernel _ZN7rocprim17ROCPRIM_304000_NS6detail25onesweep_iteration_kernelINS1_34wrapped_radix_sort_onesweep_configINS0_14default_configEtN2at4cuda3cub6detail10OpaqueTypeILi8EEEEELb1EPtSC_PSA_SD_mNS0_19identity_decomposerEEEvT1_T2_T3_T4_jPT5_SK_PNS1_23onesweep_lookback_stateET6_jjj
		.amdhsa_group_segment_fixed_size 38912
		.amdhsa_private_segment_fixed_size 0
		.amdhsa_kernarg_size 336
		.amdhsa_user_sgpr_count 2
		.amdhsa_user_sgpr_dispatch_ptr 0
		.amdhsa_user_sgpr_queue_ptr 0
		.amdhsa_user_sgpr_kernarg_segment_ptr 1
		.amdhsa_user_sgpr_dispatch_id 0
		.amdhsa_user_sgpr_kernarg_preload_length 0
		.amdhsa_user_sgpr_kernarg_preload_offset 0
		.amdhsa_user_sgpr_private_segment_size 0
		.amdhsa_uses_dynamic_stack 0
		.amdhsa_enable_private_segment 0
		.amdhsa_system_sgpr_workgroup_id_x 1
		.amdhsa_system_sgpr_workgroup_id_y 0
		.amdhsa_system_sgpr_workgroup_id_z 0
		.amdhsa_system_sgpr_workgroup_info 0
		.amdhsa_system_vgpr_workitem_id 2
		.amdhsa_next_free_vgpr 100
		.amdhsa_next_free_sgpr 97
		.amdhsa_accum_offset 100
		.amdhsa_reserve_vcc 1
		.amdhsa_float_round_mode_32 0
		.amdhsa_float_round_mode_16_64 0
		.amdhsa_float_denorm_mode_32 3
		.amdhsa_float_denorm_mode_16_64 3
		.amdhsa_dx10_clamp 1
		.amdhsa_ieee_mode 1
		.amdhsa_fp16_overflow 0
		.amdhsa_tg_split 0
		.amdhsa_exception_fp_ieee_invalid_op 0
		.amdhsa_exception_fp_denorm_src 0
		.amdhsa_exception_fp_ieee_div_zero 0
		.amdhsa_exception_fp_ieee_overflow 0
		.amdhsa_exception_fp_ieee_underflow 0
		.amdhsa_exception_fp_ieee_inexact 0
		.amdhsa_exception_int_div_zero 0
	.end_amdhsa_kernel
	.section	.text._ZN7rocprim17ROCPRIM_304000_NS6detail25onesweep_iteration_kernelINS1_34wrapped_radix_sort_onesweep_configINS0_14default_configEtN2at4cuda3cub6detail10OpaqueTypeILi8EEEEELb1EPtSC_PSA_SD_mNS0_19identity_decomposerEEEvT1_T2_T3_T4_jPT5_SK_PNS1_23onesweep_lookback_stateET6_jjj,"axG",@progbits,_ZN7rocprim17ROCPRIM_304000_NS6detail25onesweep_iteration_kernelINS1_34wrapped_radix_sort_onesweep_configINS0_14default_configEtN2at4cuda3cub6detail10OpaqueTypeILi8EEEEELb1EPtSC_PSA_SD_mNS0_19identity_decomposerEEEvT1_T2_T3_T4_jPT5_SK_PNS1_23onesweep_lookback_stateET6_jjj,comdat
.Lfunc_end15:
	.size	_ZN7rocprim17ROCPRIM_304000_NS6detail25onesweep_iteration_kernelINS1_34wrapped_radix_sort_onesweep_configINS0_14default_configEtN2at4cuda3cub6detail10OpaqueTypeILi8EEEEELb1EPtSC_PSA_SD_mNS0_19identity_decomposerEEEvT1_T2_T3_T4_jPT5_SK_PNS1_23onesweep_lookback_stateET6_jjj, .Lfunc_end15-_ZN7rocprim17ROCPRIM_304000_NS6detail25onesweep_iteration_kernelINS1_34wrapped_radix_sort_onesweep_configINS0_14default_configEtN2at4cuda3cub6detail10OpaqueTypeILi8EEEEELb1EPtSC_PSA_SD_mNS0_19identity_decomposerEEEvT1_T2_T3_T4_jPT5_SK_PNS1_23onesweep_lookback_stateET6_jjj
                                        ; -- End function
	.set _ZN7rocprim17ROCPRIM_304000_NS6detail25onesweep_iteration_kernelINS1_34wrapped_radix_sort_onesweep_configINS0_14default_configEtN2at4cuda3cub6detail10OpaqueTypeILi8EEEEELb1EPtSC_PSA_SD_mNS0_19identity_decomposerEEEvT1_T2_T3_T4_jPT5_SK_PNS1_23onesweep_lookback_stateET6_jjj.num_vgpr, 100
	.set _ZN7rocprim17ROCPRIM_304000_NS6detail25onesweep_iteration_kernelINS1_34wrapped_radix_sort_onesweep_configINS0_14default_configEtN2at4cuda3cub6detail10OpaqueTypeILi8EEEEELb1EPtSC_PSA_SD_mNS0_19identity_decomposerEEEvT1_T2_T3_T4_jPT5_SK_PNS1_23onesweep_lookback_stateET6_jjj.num_agpr, 0
	.set _ZN7rocprim17ROCPRIM_304000_NS6detail25onesweep_iteration_kernelINS1_34wrapped_radix_sort_onesweep_configINS0_14default_configEtN2at4cuda3cub6detail10OpaqueTypeILi8EEEEELb1EPtSC_PSA_SD_mNS0_19identity_decomposerEEEvT1_T2_T3_T4_jPT5_SK_PNS1_23onesweep_lookback_stateET6_jjj.numbered_sgpr, 97
	.set _ZN7rocprim17ROCPRIM_304000_NS6detail25onesweep_iteration_kernelINS1_34wrapped_radix_sort_onesweep_configINS0_14default_configEtN2at4cuda3cub6detail10OpaqueTypeILi8EEEEELb1EPtSC_PSA_SD_mNS0_19identity_decomposerEEEvT1_T2_T3_T4_jPT5_SK_PNS1_23onesweep_lookback_stateET6_jjj.num_named_barrier, 0
	.set _ZN7rocprim17ROCPRIM_304000_NS6detail25onesweep_iteration_kernelINS1_34wrapped_radix_sort_onesweep_configINS0_14default_configEtN2at4cuda3cub6detail10OpaqueTypeILi8EEEEELb1EPtSC_PSA_SD_mNS0_19identity_decomposerEEEvT1_T2_T3_T4_jPT5_SK_PNS1_23onesweep_lookback_stateET6_jjj.private_seg_size, 0
	.set _ZN7rocprim17ROCPRIM_304000_NS6detail25onesweep_iteration_kernelINS1_34wrapped_radix_sort_onesweep_configINS0_14default_configEtN2at4cuda3cub6detail10OpaqueTypeILi8EEEEELb1EPtSC_PSA_SD_mNS0_19identity_decomposerEEEvT1_T2_T3_T4_jPT5_SK_PNS1_23onesweep_lookback_stateET6_jjj.uses_vcc, 1
	.set _ZN7rocprim17ROCPRIM_304000_NS6detail25onesweep_iteration_kernelINS1_34wrapped_radix_sort_onesweep_configINS0_14default_configEtN2at4cuda3cub6detail10OpaqueTypeILi8EEEEELb1EPtSC_PSA_SD_mNS0_19identity_decomposerEEEvT1_T2_T3_T4_jPT5_SK_PNS1_23onesweep_lookback_stateET6_jjj.uses_flat_scratch, 0
	.set _ZN7rocprim17ROCPRIM_304000_NS6detail25onesweep_iteration_kernelINS1_34wrapped_radix_sort_onesweep_configINS0_14default_configEtN2at4cuda3cub6detail10OpaqueTypeILi8EEEEELb1EPtSC_PSA_SD_mNS0_19identity_decomposerEEEvT1_T2_T3_T4_jPT5_SK_PNS1_23onesweep_lookback_stateET6_jjj.has_dyn_sized_stack, 0
	.set _ZN7rocprim17ROCPRIM_304000_NS6detail25onesweep_iteration_kernelINS1_34wrapped_radix_sort_onesweep_configINS0_14default_configEtN2at4cuda3cub6detail10OpaqueTypeILi8EEEEELb1EPtSC_PSA_SD_mNS0_19identity_decomposerEEEvT1_T2_T3_T4_jPT5_SK_PNS1_23onesweep_lookback_stateET6_jjj.has_recursion, 0
	.set _ZN7rocprim17ROCPRIM_304000_NS6detail25onesweep_iteration_kernelINS1_34wrapped_radix_sort_onesweep_configINS0_14default_configEtN2at4cuda3cub6detail10OpaqueTypeILi8EEEEELb1EPtSC_PSA_SD_mNS0_19identity_decomposerEEEvT1_T2_T3_T4_jPT5_SK_PNS1_23onesweep_lookback_stateET6_jjj.has_indirect_call, 0
	.section	.AMDGPU.csdata,"",@progbits
; Kernel info:
; codeLenInByte = 27428
; TotalNumSgprs: 103
; NumVgprs: 100
; NumAgprs: 0
; TotalNumVgprs: 100
; ScratchSize: 0
; MemoryBound: 0
; FloatMode: 240
; IeeeMode: 1
; LDSByteSize: 38912 bytes/workgroup (compile time only)
; SGPRBlocks: 12
; VGPRBlocks: 12
; NumSGPRsForWavesPerEU: 103
; NumVGPRsForWavesPerEU: 100
; AccumOffset: 100
; Occupancy: 4
; WaveLimiterHint : 1
; COMPUTE_PGM_RSRC2:SCRATCH_EN: 0
; COMPUTE_PGM_RSRC2:USER_SGPR: 2
; COMPUTE_PGM_RSRC2:TRAP_HANDLER: 0
; COMPUTE_PGM_RSRC2:TGID_X_EN: 1
; COMPUTE_PGM_RSRC2:TGID_Y_EN: 0
; COMPUTE_PGM_RSRC2:TGID_Z_EN: 0
; COMPUTE_PGM_RSRC2:TIDIG_COMP_CNT: 2
; COMPUTE_PGM_RSRC3_GFX90A:ACCUM_OFFSET: 24
; COMPUTE_PGM_RSRC3_GFX90A:TG_SPLIT: 0
	.section	.text._ZN7rocprim17ROCPRIM_304000_NS6detail28radix_sort_block_sort_kernelINS1_36wrapped_radix_sort_block_sort_configINS0_13kernel_configILj256ELj4ELj4294967295EEEtN2at4cuda3cub6detail10OpaqueTypeILi8EEEEELb0EPKtPtPKSB_PSB_NS0_19identity_decomposerEEEvT1_T2_T3_T4_jT5_jj,"axG",@progbits,_ZN7rocprim17ROCPRIM_304000_NS6detail28radix_sort_block_sort_kernelINS1_36wrapped_radix_sort_block_sort_configINS0_13kernel_configILj256ELj4ELj4294967295EEEtN2at4cuda3cub6detail10OpaqueTypeILi8EEEEELb0EPKtPtPKSB_PSB_NS0_19identity_decomposerEEEvT1_T2_T3_T4_jT5_jj,comdat
	.protected	_ZN7rocprim17ROCPRIM_304000_NS6detail28radix_sort_block_sort_kernelINS1_36wrapped_radix_sort_block_sort_configINS0_13kernel_configILj256ELj4ELj4294967295EEEtN2at4cuda3cub6detail10OpaqueTypeILi8EEEEELb0EPKtPtPKSB_PSB_NS0_19identity_decomposerEEEvT1_T2_T3_T4_jT5_jj ; -- Begin function _ZN7rocprim17ROCPRIM_304000_NS6detail28radix_sort_block_sort_kernelINS1_36wrapped_radix_sort_block_sort_configINS0_13kernel_configILj256ELj4ELj4294967295EEEtN2at4cuda3cub6detail10OpaqueTypeILi8EEEEELb0EPKtPtPKSB_PSB_NS0_19identity_decomposerEEEvT1_T2_T3_T4_jT5_jj
	.globl	_ZN7rocprim17ROCPRIM_304000_NS6detail28radix_sort_block_sort_kernelINS1_36wrapped_radix_sort_block_sort_configINS0_13kernel_configILj256ELj4ELj4294967295EEEtN2at4cuda3cub6detail10OpaqueTypeILi8EEEEELb0EPKtPtPKSB_PSB_NS0_19identity_decomposerEEEvT1_T2_T3_T4_jT5_jj
	.p2align	8
	.type	_ZN7rocprim17ROCPRIM_304000_NS6detail28radix_sort_block_sort_kernelINS1_36wrapped_radix_sort_block_sort_configINS0_13kernel_configILj256ELj4ELj4294967295EEEtN2at4cuda3cub6detail10OpaqueTypeILi8EEEEELb0EPKtPtPKSB_PSB_NS0_19identity_decomposerEEEvT1_T2_T3_T4_jT5_jj,@function
_ZN7rocprim17ROCPRIM_304000_NS6detail28radix_sort_block_sort_kernelINS1_36wrapped_radix_sort_block_sort_configINS0_13kernel_configILj256ELj4ELj4294967295EEEtN2at4cuda3cub6detail10OpaqueTypeILi8EEEEELb0EPKtPtPKSB_PSB_NS0_19identity_decomposerEEEvT1_T2_T3_T4_jT5_jj: ; @_ZN7rocprim17ROCPRIM_304000_NS6detail28radix_sort_block_sort_kernelINS1_36wrapped_radix_sort_block_sort_configINS0_13kernel_configILj256ELj4ELj4294967295EEEtN2at4cuda3cub6detail10OpaqueTypeILi8EEEEELb0EPKtPtPKSB_PSB_NS0_19identity_decomposerEEEvT1_T2_T3_T4_jT5_jj
; %bb.0:
	s_load_dword s4, s[0:1], 0x20
	s_load_dwordx8 s[36:43], s[0:1], 0x0
	s_lshl_b32 s28, s2, 10
	s_mov_b32 s29, 0
	v_and_b32_e32 v8, 0x3ff, v0
	s_waitcnt lgkmcnt(0)
	s_lshr_b32 s3, s4, 10
	s_cmp_lg_u32 s2, s3
	s_cselect_b64 s[30:31], -1, 0
	s_lshl_b64 s[34:35], s[28:29], 1
	v_mbcnt_lo_u32_b32 v1, -1, 0
	s_add_u32 s6, s36, s34
	v_mbcnt_hi_u32_b32 v1, -1, v1
	v_lshlrev_b32_e32 v9, 2, v8
	s_addc_u32 s7, s37, s35
	v_and_b32_e32 v12, 0x300, v9
	v_mov_b32_e32 v5, 0
	v_lshlrev_b32_e32 v4, 1, v1
	v_lshl_add_u64 v[2:3], s[6:7], 0, v[4:5]
	v_lshlrev_b32_e32 v4, 1, v12
	s_cmp_eq_u32 s2, s3
	v_lshl_add_u64 v[10:11], v[2:3], 0, v[4:5]
	v_lshlrev_b32_e32 v4, 3, v1
	v_lshlrev_b32_e32 v6, 3, v12
	v_add_u32_e32 v13, v1, v12
	s_cbranch_scc1 .LBB16_2
; %bb.1:
	s_lshl_b64 s[2:3], s[28:29], 3
	s_add_u32 s2, s40, s2
	s_addc_u32 s3, s41, s3
	v_lshl_add_u64 v[2:3], s[2:3], 0, v[4:5]
	v_mov_b32_e32 v7, v5
	v_lshl_add_u64 v[2:3], v[2:3], 0, v[6:7]
	global_load_ushort v14, v[10:11], off
	global_load_ushort v15, v[10:11], off offset:128
	global_load_ushort v16, v[10:11], off offset:256
	;; [unrolled: 1-line block ×3, first 2 shown]
	global_load_dwordx2 v[44:45], v[2:3], off
	global_load_dwordx2 v[46:47], v[2:3], off offset:512
	global_load_dwordx2 v[48:49], v[2:3], off offset:1024
	;; [unrolled: 1-line block ×3, first 2 shown]
	s_mov_b32 s2, 0x5040100
	v_add_u32_e32 v5, v1, v12
	v_add_u32_e32 v12, 64, v5
	s_waitcnt vmcnt(6)
	v_perm_b32 v2, v15, v14, s2
	v_add_u32_e32 v14, 0x80, v5
	s_waitcnt vmcnt(4)
	v_perm_b32 v3, v17, v16, s2
	v_add_u32_e32 v15, 0xc0, v5
	s_sub_i32 s33, s4, s28
	s_cbranch_execz .LBB16_3
	s_branch .LBB16_17
.LBB16_2:
                                        ; implicit-def: $vgpr2_vgpr3
                                        ; implicit-def: $vgpr44_vgpr45
                                        ; implicit-def: $vgpr46_vgpr47
                                        ; implicit-def: $vgpr48_vgpr49
                                        ; implicit-def: $vgpr50_vgpr51
                                        ; implicit-def: $vgpr5
                                        ; implicit-def: $vgpr12
                                        ; implicit-def: $vgpr14
                                        ; implicit-def: $vgpr15
	s_sub_i32 s33, s4, s28
.LBB16_3:
	v_mov_b32_e32 v2, -1
	v_cmp_gt_u32_e32 vcc, s33, v13
	v_mov_b32_e32 v3, v2
	s_and_saveexec_b64 s[2:3], vcc
	s_cbranch_execz .LBB16_5
; %bb.4:
	global_load_ushort v3, v[10:11], off
	v_mov_b32_e32 v5, 0x5040100
	v_mov_b32_e32 v15, v2
	s_waitcnt vmcnt(0)
	v_perm_b32 v14, -1, v3, v5
	v_mov_b64_e32 v[2:3], v[14:15]
.LBB16_5:
	s_or_b64 exec, exec, s[2:3]
	v_add_u32_e32 v12, 64, v13
	v_cmp_gt_u32_e64 s[2:3], s33, v12
	s_and_saveexec_b64 s[4:5], s[2:3]
	s_cbranch_execz .LBB16_7
; %bb.6:
	global_load_ushort v5, v[10:11], off offset:128
	s_mov_b32 s6, 0x5040100
	s_waitcnt vmcnt(0)
	v_perm_b32 v2, v5, v2, s6
.LBB16_7:
	s_or_b64 exec, exec, s[4:5]
	v_add_u32_e32 v14, 0x80, v13
	v_cmp_gt_u32_e64 s[4:5], s33, v14
	s_and_saveexec_b64 s[6:7], s[4:5]
	s_cbranch_execz .LBB16_9
; %bb.8:
	global_load_ushort v5, v[10:11], off offset:256
	s_mov_b32 s8, 0xffff
	s_waitcnt vmcnt(0)
	v_bfi_b32 v3, s8, v5, v3
.LBB16_9:
	s_or_b64 exec, exec, s[6:7]
	v_add_u32_e32 v15, 0xc0, v13
	v_cmp_gt_u32_e64 s[6:7], s33, v15
	s_and_saveexec_b64 s[8:9], s[6:7]
	s_cbranch_execz .LBB16_11
; %bb.10:
	global_load_ushort v5, v[10:11], off offset:384
	s_mov_b32 s10, 0x5040100
	s_waitcnt vmcnt(0)
	v_perm_b32 v3, v5, v3, s10
.LBB16_11:
	s_or_b64 exec, exec, s[8:9]
	s_lshl_b64 s[8:9], s[28:29], 3
	s_add_u32 s8, s40, s8
	s_addc_u32 s9, s41, s9
	v_mov_b32_e32 v5, 0
	v_lshl_add_u64 v[10:11], s[8:9], 0, v[4:5]
	v_mov_b32_e32 v7, v5
	v_lshl_add_u64 v[4:5], v[10:11], 0, v[6:7]
                                        ; implicit-def: $vgpr44_vgpr45
	s_and_saveexec_b64 s[8:9], vcc
	s_cbranch_execnz .LBB16_54
; %bb.12:
	s_or_b64 exec, exec, s[8:9]
                                        ; implicit-def: $vgpr46_vgpr47
	s_and_saveexec_b64 s[8:9], s[2:3]
	s_cbranch_execnz .LBB16_55
.LBB16_13:
	s_or_b64 exec, exec, s[8:9]
                                        ; implicit-def: $vgpr48_vgpr49
	s_and_saveexec_b64 s[2:3], s[4:5]
	s_cbranch_execnz .LBB16_56
.LBB16_14:
	s_or_b64 exec, exec, s[2:3]
                                        ; implicit-def: $vgpr50_vgpr51
	s_and_saveexec_b64 s[2:3], s[6:7]
	s_cbranch_execz .LBB16_16
.LBB16_15:
	global_load_dwordx2 v[50:51], v[4:5], off offset:1536
.LBB16_16:
	s_or_b64 exec, exec, s[2:3]
	v_mov_b32_e32 v5, v13
.LBB16_17:
	s_load_dwordx2 s[36:37], s[0:1], 0x28
	s_load_dword s2, s[0:1], 0x3c
	v_bfe_u32 v4, v0, 10, 10
	v_bfe_u32 v0, v0, 20, 10
	s_mov_b32 s26, 0
	v_cmp_lt_u32_e64 s[10:11], 31, v1
	s_waitcnt lgkmcnt(0)
	s_lshr_b32 s0, s2, 16
	s_and_b32 s1, s2, 0xffff
	v_mad_u32_u24 v0, v0, s0, v4
	v_mad_u64_u32 v[6:7], s[0:1], v0, s1, v[8:9]
	v_lshrrev_b32_e32 v0, 4, v6
	v_and_b32_e32 v23, 0xffffffc, v0
	v_and_b32_e32 v0, 15, v1
	v_cmp_eq_u32_e64 s[0:1], 0, v0
	v_cmp_lt_u32_e64 s[2:3], 1, v0
	v_cmp_lt_u32_e64 s[4:5], 3, v0
	;; [unrolled: 1-line block ×3, first 2 shown]
	v_and_b32_e32 v0, 16, v1
	v_cmp_eq_u32_e64 s[8:9], 0, v0
	v_and_b32_e32 v0, 0x3c0, v8
	v_min_u32_e32 v0, 0xc0, v0
	v_or_b32_e32 v0, 63, v0
	v_cmp_eq_u32_e64 s[12:13], v8, v0
	v_subrev_co_u32_e64 v0, s[18:19], 1, v1
	v_and_b32_e32 v4, 64, v1
	v_cmp_lt_i32_e32 vcc, v0, v4
	v_lshlrev_b32_e32 v9, 2, v9
	v_lshlrev_b32_e32 v27, 1, v5
	v_cndmask_b32_e32 v0, v0, v1, vcc
	v_lshlrev_b32_e32 v24, 2, v0
	v_lshrrev_b32_e32 v0, 4, v8
	v_and_b32_e32 v1, 3, v1
	v_and_b32_e32 v25, 60, v0
	v_mul_i32_i24_e32 v0, -12, v8
	v_cmp_eq_u32_e64 s[22:23], 0, v1
	v_cmp_lt_u32_e64 s[24:25], 1, v1
	v_lshlrev_b32_e32 v28, 1, v12
	v_lshlrev_b32_e32 v29, 1, v14
	;; [unrolled: 1-line block ×3, first 2 shown]
	v_mul_lo_u32 v1, v5, 6
	v_mul_lo_u32 v4, v12, 6
	;; [unrolled: 1-line block ×4, first 2 shown]
	s_mov_b32 s27, s26
	s_mov_b32 s44, s26
	;; [unrolled: 1-line block ×3, first 2 shown]
	s_add_i32 s40, s37, s36
	v_cmp_gt_u32_e64 s[14:15], 4, v8
	v_cmp_lt_u32_e64 s[16:17], 63, v8
	v_cmp_eq_u32_e64 s[20:21], 0, v8
	v_add_u32_e32 v26, -4, v25
	v_mov_b64_e32 v[14:15], s[26:27]
	v_mov_b64_e32 v[16:17], s[44:45]
	v_mov_b32_e32 v19, 0
	v_add_u32_e32 v31, v9, v0
	s_mov_b32 s41, 0x5040100
	v_add_u32_e32 v32, v27, v1
	v_add_u32_e32 v33, v28, v4
	;; [unrolled: 1-line block ×4, first 2 shown]
	s_branch .LBB16_19
.LBB16_18:                              ;   in Loop: Header=BB16_19 Depth=1
	s_andn2_b64 vcc, exec, s[26:27]
	s_cbranch_vccz .LBB16_35
.LBB16_19:                              ; =>This Inner Loop Header: Depth=1
	v_mov_b64_e32 v[20:21], v[2:3]
	s_min_u32 s26, s37, 8
	s_lshl_b32 s44, -1, s26
	v_lshrrev_b32_sdwa v0, s36, v20 dst_sel:DWORD dst_unused:UNUSED_PAD src0_sel:DWORD src1_sel:WORD_0
	v_bitop3_b32 v2, v0, s44, v0 bitop3:0x30
	v_and_b32_e32 v18, 1, v2
	v_lshl_add_u64 v[0:1], v[18:19], 0, -1
	v_cmp_ne_u32_e32 vcc, 0, v18
	v_lshlrev_b32_e32 v3, 4, v2
	s_waitcnt vmcnt(0)
	v_mov_b64_e32 v[12:13], v[44:45]
	v_xor_b32_e32 v1, vcc_hi, v1
	v_xor_b32_e32 v0, vcc_lo, v0
	v_and_b32_e32 v18, exec_hi, v1
	v_and_b32_e32 v22, exec_lo, v0
	v_lshlrev_b32_e32 v1, 30, v2
	v_mov_b32_e32 v0, v19
	v_cmp_gt_i64_e32 vcc, 0, v[0:1]
	v_not_b32_e32 v0, v1
	v_ashrrev_i32_e32 v0, 31, v0
	v_xor_b32_e32 v1, vcc_hi, v0
	v_xor_b32_e32 v0, vcc_lo, v0
	v_and_b32_e32 v18, v18, v1
	v_and_b32_e32 v22, v22, v0
	v_lshlrev_b32_e32 v1, 29, v2
	v_mov_b32_e32 v0, v19
	v_cmp_gt_i64_e32 vcc, 0, v[0:1]
	v_not_b32_e32 v0, v1
	v_ashrrev_i32_e32 v0, 31, v0
	v_xor_b32_e32 v1, vcc_hi, v0
	v_xor_b32_e32 v0, vcc_lo, v0
	v_and_b32_e32 v18, v18, v1
	v_and_b32_e32 v22, v22, v0
	;; [unrolled: 9-line block ×7, first 2 shown]
	v_mbcnt_lo_u32_b32 v2, v0, 0
	v_mbcnt_hi_u32_b32 v22, v1, v2
	v_cmp_eq_u32_e32 vcc, 0, v22
	v_cmp_ne_u64_e64 s[26:27], 0, v[0:1]
	v_mov_b64_e32 v[10:11], v[46:47]
	v_mov_b64_e32 v[6:7], v[48:49]
	;; [unrolled: 1-line block ×3, first 2 shown]
	s_and_b64 s[46:47], s[26:27], vcc
	v_add_u32_e32 v37, v23, v3
	ds_write2_b64 v9, v[14:15], v[16:17] offset0:2 offset1:3
	s_waitcnt lgkmcnt(0)
	s_barrier
	; wave barrier
	s_and_saveexec_b64 s[26:27], s[46:47]
; %bb.20:                               ;   in Loop: Header=BB16_19 Depth=1
	v_bcnt_u32_b32 v0, v0, 0
	v_bcnt_u32_b32 v0, v1, v0
	ds_write_b32 v37, v0 offset:16
; %bb.21:                               ;   in Loop: Header=BB16_19 Depth=1
	s_or_b64 exec, exec, s[26:27]
	v_lshrrev_b32_e32 v36, 16, v20
	s_not_b32 s44, s44
	v_lshrrev_b32_e32 v0, s36, v36
	v_and_b32_e32 v2, s44, v0
	v_lshlrev_b32_e32 v0, 4, v2
	v_and_b32_e32 v18, 1, v2
	v_add_u32_e32 v39, v23, v0
	v_lshl_add_u64 v[0:1], v[18:19], 0, -1
	v_cmp_ne_u32_e32 vcc, 0, v18
	; wave barrier
	s_nop 1
	v_xor_b32_e32 v1, vcc_hi, v1
	v_xor_b32_e32 v0, vcc_lo, v0
	v_and_b32_e32 v3, exec_hi, v1
	v_and_b32_e32 v18, exec_lo, v0
	v_lshlrev_b32_e32 v1, 30, v2
	v_mov_b32_e32 v0, v19
	v_cmp_gt_i64_e32 vcc, 0, v[0:1]
	v_not_b32_e32 v0, v1
	v_ashrrev_i32_e32 v0, 31, v0
	v_xor_b32_e32 v1, vcc_hi, v0
	v_xor_b32_e32 v0, vcc_lo, v0
	v_and_b32_e32 v3, v3, v1
	v_and_b32_e32 v18, v18, v0
	v_lshlrev_b32_e32 v1, 29, v2
	v_mov_b32_e32 v0, v19
	v_cmp_gt_i64_e32 vcc, 0, v[0:1]
	v_not_b32_e32 v0, v1
	v_ashrrev_i32_e32 v0, 31, v0
	v_xor_b32_e32 v1, vcc_hi, v0
	v_xor_b32_e32 v0, vcc_lo, v0
	v_and_b32_e32 v3, v3, v1
	v_and_b32_e32 v18, v18, v0
	v_lshlrev_b32_e32 v1, 28, v2
	v_mov_b32_e32 v0, v19
	v_cmp_gt_i64_e32 vcc, 0, v[0:1]
	v_not_b32_e32 v0, v1
	v_ashrrev_i32_e32 v0, 31, v0
	v_xor_b32_e32 v1, vcc_hi, v0
	v_xor_b32_e32 v0, vcc_lo, v0
	v_and_b32_e32 v3, v3, v1
	v_and_b32_e32 v18, v18, v0
	v_lshlrev_b32_e32 v1, 27, v2
	v_mov_b32_e32 v0, v19
	v_cmp_gt_i64_e32 vcc, 0, v[0:1]
	v_not_b32_e32 v0, v1
	v_ashrrev_i32_e32 v0, 31, v0
	v_xor_b32_e32 v1, vcc_hi, v0
	v_xor_b32_e32 v0, vcc_lo, v0
	v_and_b32_e32 v3, v3, v1
	v_and_b32_e32 v18, v18, v0
	v_lshlrev_b32_e32 v1, 26, v2
	v_mov_b32_e32 v0, v19
	v_cmp_gt_i64_e32 vcc, 0, v[0:1]
	v_not_b32_e32 v0, v1
	v_ashrrev_i32_e32 v0, 31, v0
	v_xor_b32_e32 v1, vcc_hi, v0
	v_xor_b32_e32 v0, vcc_lo, v0
	v_and_b32_e32 v3, v3, v1
	v_and_b32_e32 v18, v18, v0
	v_lshlrev_b32_e32 v1, 25, v2
	v_mov_b32_e32 v0, v19
	v_cmp_gt_i64_e32 vcc, 0, v[0:1]
	v_not_b32_e32 v0, v1
	v_ashrrev_i32_e32 v0, 31, v0
	v_xor_b32_e32 v1, vcc_hi, v0
	v_xor_b32_e32 v0, vcc_lo, v0
	v_and_b32_e32 v3, v3, v1
	v_and_b32_e32 v18, v18, v0
	v_lshlrev_b32_e32 v1, 24, v2
	v_mov_b32_e32 v0, v19
	v_cmp_gt_i64_e32 vcc, 0, v[0:1]
	v_not_b32_e32 v0, v1
	v_ashrrev_i32_e32 v0, 31, v0
	v_xor_b32_e32 v1, vcc_hi, v0
	v_xor_b32_e32 v0, vcc_lo, v0
	ds_read_b32 v38, v39 offset:16
	v_and_b32_e32 v0, v18, v0
	v_and_b32_e32 v1, v3, v1
	v_mbcnt_lo_u32_b32 v2, v0, 0
	v_mbcnt_hi_u32_b32 v40, v1, v2
	v_cmp_eq_u32_e32 vcc, 0, v40
	v_cmp_ne_u64_e64 s[26:27], 0, v[0:1]
	s_and_b64 s[46:47], s[26:27], vcc
	; wave barrier
	s_and_saveexec_b64 s[26:27], s[46:47]
	s_cbranch_execz .LBB16_23
; %bb.22:                               ;   in Loop: Header=BB16_19 Depth=1
	v_bcnt_u32_b32 v0, v0, 0
	v_bcnt_u32_b32 v0, v1, v0
	s_waitcnt lgkmcnt(0)
	v_add_u32_e32 v0, v38, v0
	ds_write_b32 v39, v0 offset:16
.LBB16_23:                              ;   in Loop: Header=BB16_19 Depth=1
	s_or_b64 exec, exec, s[26:27]
	v_lshrrev_b32_sdwa v0, s36, v21 dst_sel:DWORD dst_unused:UNUSED_PAD src0_sel:DWORD src1_sel:WORD_0
	v_and_b32_e32 v2, s44, v0
	v_lshlrev_b32_e32 v0, 4, v2
	v_and_b32_e32 v18, 1, v2
	v_add_u32_e32 v42, v23, v0
	v_lshl_add_u64 v[0:1], v[18:19], 0, -1
	v_cmp_ne_u32_e32 vcc, 0, v18
	; wave barrier
	s_nop 1
	v_xor_b32_e32 v1, vcc_hi, v1
	v_xor_b32_e32 v0, vcc_lo, v0
	v_and_b32_e32 v3, exec_hi, v1
	v_and_b32_e32 v18, exec_lo, v0
	v_lshlrev_b32_e32 v1, 30, v2
	v_mov_b32_e32 v0, v19
	v_cmp_gt_i64_e32 vcc, 0, v[0:1]
	v_not_b32_e32 v0, v1
	v_ashrrev_i32_e32 v0, 31, v0
	v_xor_b32_e32 v1, vcc_hi, v0
	v_xor_b32_e32 v0, vcc_lo, v0
	v_and_b32_e32 v3, v3, v1
	v_and_b32_e32 v18, v18, v0
	v_lshlrev_b32_e32 v1, 29, v2
	v_mov_b32_e32 v0, v19
	v_cmp_gt_i64_e32 vcc, 0, v[0:1]
	v_not_b32_e32 v0, v1
	v_ashrrev_i32_e32 v0, 31, v0
	v_xor_b32_e32 v1, vcc_hi, v0
	v_xor_b32_e32 v0, vcc_lo, v0
	v_and_b32_e32 v3, v3, v1
	v_and_b32_e32 v18, v18, v0
	;; [unrolled: 9-line block ×6, first 2 shown]
	v_lshlrev_b32_e32 v1, 24, v2
	v_mov_b32_e32 v0, v19
	v_cmp_gt_i64_e32 vcc, 0, v[0:1]
	v_not_b32_e32 v0, v1
	v_ashrrev_i32_e32 v0, 31, v0
	v_xor_b32_e32 v1, vcc_hi, v0
	v_xor_b32_e32 v0, vcc_lo, v0
	ds_read_b32 v41, v42 offset:16
	v_and_b32_e32 v0, v18, v0
	v_and_b32_e32 v1, v3, v1
	v_mbcnt_lo_u32_b32 v2, v0, 0
	v_mbcnt_hi_u32_b32 v44, v1, v2
	v_cmp_eq_u32_e32 vcc, 0, v44
	v_cmp_ne_u64_e64 s[26:27], 0, v[0:1]
	s_and_b64 s[46:47], s[26:27], vcc
	; wave barrier
	s_and_saveexec_b64 s[26:27], s[46:47]
	s_cbranch_execz .LBB16_25
; %bb.24:                               ;   in Loop: Header=BB16_19 Depth=1
	v_bcnt_u32_b32 v0, v0, 0
	v_bcnt_u32_b32 v0, v1, v0
	s_waitcnt lgkmcnt(0)
	v_add_u32_e32 v0, v41, v0
	ds_write_b32 v42, v0 offset:16
.LBB16_25:                              ;   in Loop: Header=BB16_19 Depth=1
	s_or_b64 exec, exec, s[26:27]
	v_lshrrev_b32_e32 v43, 16, v21
	v_lshrrev_b32_e32 v0, s36, v43
	v_and_b32_e32 v2, s44, v0
	v_lshlrev_b32_e32 v0, 4, v2
	v_and_b32_e32 v18, 1, v2
	v_add_u32_e32 v46, v23, v0
	v_lshl_add_u64 v[0:1], v[18:19], 0, -1
	v_cmp_ne_u32_e32 vcc, 0, v18
	; wave barrier
	s_nop 1
	v_xor_b32_e32 v1, vcc_hi, v1
	v_xor_b32_e32 v0, vcc_lo, v0
	v_and_b32_e32 v3, exec_hi, v1
	v_and_b32_e32 v18, exec_lo, v0
	v_lshlrev_b32_e32 v1, 30, v2
	v_mov_b32_e32 v0, v19
	v_cmp_gt_i64_e32 vcc, 0, v[0:1]
	v_not_b32_e32 v0, v1
	v_ashrrev_i32_e32 v0, 31, v0
	v_xor_b32_e32 v1, vcc_hi, v0
	v_xor_b32_e32 v0, vcc_lo, v0
	v_and_b32_e32 v3, v3, v1
	v_and_b32_e32 v18, v18, v0
	v_lshlrev_b32_e32 v1, 29, v2
	v_mov_b32_e32 v0, v19
	v_cmp_gt_i64_e32 vcc, 0, v[0:1]
	v_not_b32_e32 v0, v1
	v_ashrrev_i32_e32 v0, 31, v0
	v_xor_b32_e32 v1, vcc_hi, v0
	v_xor_b32_e32 v0, vcc_lo, v0
	v_and_b32_e32 v3, v3, v1
	v_and_b32_e32 v18, v18, v0
	;; [unrolled: 9-line block ×6, first 2 shown]
	v_lshlrev_b32_e32 v1, 24, v2
	v_mov_b32_e32 v0, v19
	v_cmp_gt_i64_e32 vcc, 0, v[0:1]
	v_not_b32_e32 v0, v1
	v_ashrrev_i32_e32 v0, 31, v0
	v_xor_b32_e32 v1, vcc_hi, v0
	v_xor_b32_e32 v0, vcc_lo, v0
	ds_read_b32 v45, v46 offset:16
	v_and_b32_e32 v0, v18, v0
	v_and_b32_e32 v1, v3, v1
	v_mbcnt_lo_u32_b32 v2, v0, 0
	v_mbcnt_hi_u32_b32 v18, v1, v2
	v_cmp_eq_u32_e32 vcc, 0, v18
	v_cmp_ne_u64_e64 s[26:27], 0, v[0:1]
	s_and_b64 s[44:45], s[26:27], vcc
	; wave barrier
	s_and_saveexec_b64 s[26:27], s[44:45]
	s_cbranch_execz .LBB16_27
; %bb.26:                               ;   in Loop: Header=BB16_19 Depth=1
	v_bcnt_u32_b32 v0, v0, 0
	v_bcnt_u32_b32 v0, v1, v0
	s_waitcnt lgkmcnt(0)
	v_add_u32_e32 v0, v45, v0
	ds_write_b32 v46, v0 offset:16
.LBB16_27:                              ;   in Loop: Header=BB16_19 Depth=1
	s_or_b64 exec, exec, s[26:27]
	; wave barrier
	s_waitcnt lgkmcnt(0)
	s_barrier
	ds_read2_b64 v[0:3], v9 offset0:2 offset1:3
	s_waitcnt lgkmcnt(0)
	v_add_u32_e32 v47, v1, v0
	v_add3_u32 v3, v47, v2, v3
	s_nop 1
	v_mov_b32_dpp v47, v3 row_shr:1 row_mask:0xf bank_mask:0xf
	v_cndmask_b32_e64 v47, v47, 0, s[0:1]
	v_add_u32_e32 v3, v47, v3
	s_nop 1
	v_mov_b32_dpp v47, v3 row_shr:2 row_mask:0xf bank_mask:0xf
	v_cndmask_b32_e64 v47, 0, v47, s[2:3]
	v_add_u32_e32 v3, v3, v47
	;; [unrolled: 4-line block ×4, first 2 shown]
	s_nop 1
	v_mov_b32_dpp v47, v3 row_bcast:15 row_mask:0xf bank_mask:0xf
	v_cndmask_b32_e64 v47, v47, 0, s[8:9]
	v_add_u32_e32 v3, v3, v47
	s_nop 1
	v_mov_b32_dpp v47, v3 row_bcast:31 row_mask:0xf bank_mask:0xf
	v_cndmask_b32_e64 v47, 0, v47, s[10:11]
	v_add_u32_e32 v3, v3, v47
	s_and_saveexec_b64 s[26:27], s[12:13]
; %bb.28:                               ;   in Loop: Header=BB16_19 Depth=1
	ds_write_b32 v25, v3
; %bb.29:                               ;   in Loop: Header=BB16_19 Depth=1
	s_or_b64 exec, exec, s[26:27]
	s_waitcnt lgkmcnt(0)
	s_barrier
	s_and_saveexec_b64 s[26:27], s[14:15]
	s_cbranch_execz .LBB16_31
; %bb.30:                               ;   in Loop: Header=BB16_19 Depth=1
	ds_read_b32 v47, v31
	s_waitcnt lgkmcnt(0)
	s_nop 0
	v_mov_b32_dpp v48, v47 row_shr:1 row_mask:0xf bank_mask:0xf
	v_cndmask_b32_e64 v48, v48, 0, s[22:23]
	v_add_u32_e32 v47, v48, v47
	s_nop 1
	v_mov_b32_dpp v48, v47 row_shr:2 row_mask:0xf bank_mask:0xf
	v_cndmask_b32_e64 v48, 0, v48, s[24:25]
	v_add_u32_e32 v47, v47, v48
	ds_write_b32 v31, v47
.LBB16_31:                              ;   in Loop: Header=BB16_19 Depth=1
	s_or_b64 exec, exec, s[26:27]
	v_mov_b32_e32 v47, 0
	s_waitcnt lgkmcnt(0)
	s_barrier
	s_and_saveexec_b64 s[26:27], s[16:17]
; %bb.32:                               ;   in Loop: Header=BB16_19 Depth=1
	ds_read_b32 v47, v26
; %bb.33:                               ;   in Loop: Header=BB16_19 Depth=1
	s_or_b64 exec, exec, s[26:27]
	s_waitcnt lgkmcnt(0)
	v_add_u32_e32 v3, v47, v3
	ds_bpermute_b32 v3, v24, v3
	s_add_i32 s36, s36, 8
	s_cmp_ge_u32 s36, s40
	s_mov_b64 s[26:27], -1
                                        ; implicit-def: $vgpr50_vgpr51
	s_waitcnt lgkmcnt(0)
	v_cndmask_b32_e64 v3, v3, v47, s[18:19]
	v_cndmask_b32_e64 v48, v3, 0, s[20:21]
	v_add_u32_e32 v49, v48, v0
	v_add_u32_e32 v0, v49, v1
	;; [unrolled: 1-line block ×3, first 2 shown]
	ds_write2_b64 v9, v[48:49], v[0:1] offset0:2 offset1:3
	s_waitcnt lgkmcnt(0)
	s_barrier
	ds_read_b32 v0, v37 offset:16
	ds_read_b32 v1, v39 offset:16
	;; [unrolled: 1-line block ×4, first 2 shown]
	s_waitcnt lgkmcnt(0)
	v_add_u32_e32 v42, v0, v22
	v_add3_u32 v38, v40, v38, v1
	v_add3_u32 v37, v44, v41, v2
	;; [unrolled: 1-line block ×3, first 2 shown]
	v_lshlrev_b32_e32 v39, 1, v42
	v_lshlrev_b32_e32 v22, 1, v38
	;; [unrolled: 1-line block ×4, first 2 shown]
	v_mul_lo_u32 v40, v42, 6
                                        ; implicit-def: $vgpr2_vgpr3
                                        ; implicit-def: $vgpr44_vgpr45
                                        ; implicit-def: $vgpr46_vgpr47
                                        ; implicit-def: $vgpr48_vgpr49
	s_cbranch_scc1 .LBB16_18
; %bb.34:                               ;   in Loop: Header=BB16_19 Depth=1
	s_barrier
	ds_write_b16 v39, v20
	ds_write_b16 v22, v36
	;; [unrolled: 1-line block ×4, first 2 shown]
	s_waitcnt lgkmcnt(0)
	s_barrier
	ds_read_u16 v2, v27
	ds_read_u16 v3, v29
	;; [unrolled: 1-line block ×4, first 2 shown]
	v_mad_u64_u32 v[44:45], s[26:27], v38, 6, v[22:23]
	s_waitcnt lgkmcnt(0)
	v_perm_b32 v3, v41, v3, s41
	v_add_u32_e32 v41, v39, v40
	s_barrier
	ds_write_b64 v41, v[12:13]
	ds_write_b64 v44, v[10:11]
	v_mad_u64_u32 v[44:45], s[26:27], v37, 6, v[18:19]
	ds_write_b64 v44, v[6:7]
	v_mad_u64_u32 v[44:45], s[26:27], v1, 6, v[0:1]
	ds_write_b64 v44, v[4:5]
	s_waitcnt lgkmcnt(0)
	s_barrier
	ds_read_b64 v[44:45], v32
	ds_read_b64 v[46:47], v33
	;; [unrolled: 1-line block ×4, first 2 shown]
	v_perm_b32 v2, v42, v2, s41
	s_add_i32 s37, s37, -8
	s_mov_b64 s[26:27], 0
	s_waitcnt lgkmcnt(0)
	s_barrier
	s_branch .LBB16_18
.LBB16_35:
	v_lshlrev_b32_e32 v14, 1, v8
	s_barrier
	ds_write_b16 v39, v20
	ds_write_b16 v22, v36
	;; [unrolled: 1-line block ×4, first 2 shown]
	s_waitcnt lgkmcnt(0)
	s_barrier
	ds_read_u16 v19, v14
	ds_read_u16 v17, v14 offset:512
	ds_read_u16 v16, v14 offset:1024
	;; [unrolled: 1-line block ×3, first 2 shown]
	v_add_u32_e32 v2, v39, v40
	s_waitcnt lgkmcnt(0)
	s_barrier
	ds_write_b64 v2, v[12:13]
	v_mad_u64_u32 v[2:3], s[0:1], v38, 6, v[22:23]
	ds_write_b64 v2, v[10:11]
	v_mad_u64_u32 v[2:3], s[0:1], v37, 6, v[18:19]
	v_mad_u64_u32 v[0:1], s[0:1], v1, 6, v[0:1]
	ds_write_b64 v2, v[6:7]
	ds_write_b64 v0, v[4:5]
	v_mad_u32_u24 v0, v8, 6, v14
	s_waitcnt lgkmcnt(0)
	s_barrier
	ds_read2st64_b64 v[4:7], v0 offset1:4
	ds_read2st64_b64 v[0:3], v0 offset0:8 offset1:12
	s_add_u32 s0, s38, s34
	s_addc_u32 s1, s39, s35
	v_mov_b32_e32 v15, 0
	v_lshl_add_u64 v[10:11], s[0:1], 0, v[14:15]
	s_andn2_b64 vcc, exec, s[30:31]
	v_lshlrev_b32_e32 v14, 3, v8
	s_cbranch_vccnz .LBB16_37
; %bb.36:
	s_lshl_b64 s[0:1], s[28:29], 3
	s_add_u32 s0, s42, s0
	s_addc_u32 s1, s43, s1
	v_lshl_add_u64 v[12:13], s[0:1], 0, v[14:15]
	v_add_co_u32_e32 v12, vcc, 0x1000, v12
	global_store_short v[10:11], v19, off
	global_store_short v[10:11], v17, off offset:512
	global_store_short v[10:11], v16, off offset:1024
	;; [unrolled: 1-line block ×3, first 2 shown]
	s_waitcnt lgkmcnt(1)
	global_store_dwordx2 v14, v[4:5], s[0:1]
	global_store_dwordx2 v14, v[6:7], s[0:1] offset:2048
	v_addc_co_u32_e32 v13, vcc, 0, v13, vcc
	s_mov_b64 s[4:5], -1
	s_waitcnt lgkmcnt(0)
	global_store_dwordx2 v[12:13], v[0:1], off
	s_cbranch_execz .LBB16_38
	s_branch .LBB16_51
.LBB16_37:
	s_mov_b64 s[4:5], 0
.LBB16_38:
	v_cmp_gt_u32_e32 vcc, s33, v8
	s_and_saveexec_b64 s[0:1], vcc
	s_cbranch_execz .LBB16_40
; %bb.39:
	global_store_short v[10:11], v19, off
.LBB16_40:
	s_or_b64 exec, exec, s[0:1]
	v_add_u32_e32 v12, 0x100, v8
	v_cmp_gt_u32_e64 s[0:1], s33, v12
	s_and_saveexec_b64 s[2:3], s[0:1]
	s_cbranch_execz .LBB16_42
; %bb.41:
	global_store_short v[10:11], v17, off offset:512
.LBB16_42:
	s_or_b64 exec, exec, s[2:3]
	v_add_u32_e32 v12, 0x200, v8
	v_cmp_gt_u32_e64 s[2:3], s33, v12
	s_and_saveexec_b64 s[4:5], s[2:3]
	s_cbranch_execz .LBB16_44
; %bb.43:
	global_store_short v[10:11], v16, off offset:1024
.LBB16_44:
	;; [unrolled: 8-line block ×3, first 2 shown]
	s_or_b64 exec, exec, s[6:7]
	s_lshl_b64 s[6:7], s[28:29], 3
	s_add_u32 s6, s42, s6
	s_addc_u32 s7, s43, s7
	v_mov_b32_e32 v15, 0
	v_lshl_add_u64 v[8:9], s[6:7], 0, v[14:15]
	s_and_saveexec_b64 s[6:7], vcc
	s_cbranch_execnz .LBB16_57
; %bb.47:
	s_or_b64 exec, exec, s[6:7]
	s_and_saveexec_b64 s[6:7], s[0:1]
	s_cbranch_execnz .LBB16_58
.LBB16_48:
	s_or_b64 exec, exec, s[6:7]
	s_and_saveexec_b64 s[0:1], s[2:3]
	s_cbranch_execz .LBB16_50
.LBB16_49:
	s_waitcnt lgkmcnt(1)
	v_add_co_u32_e32 v4, vcc, 0x1000, v8
	s_nop 1
	v_addc_co_u32_e32 v5, vcc, 0, v9, vcc
	s_waitcnt lgkmcnt(0)
	global_store_dwordx2 v[4:5], v[0:1], off
.LBB16_50:
	s_or_b64 exec, exec, s[0:1]
.LBB16_51:
	s_and_saveexec_b64 s[0:1], s[4:5]
	s_cbranch_execnz .LBB16_53
; %bb.52:
	s_endpgm
.LBB16_53:
	s_lshl_b64 s[0:1], s[28:29], 3
	s_add_u32 s0, s42, s0
	s_addc_u32 s1, s43, s1
	v_mov_b32_e32 v15, 0
	s_waitcnt lgkmcnt(0)
	v_lshl_add_u64 v[0:1], s[0:1], 0, v[14:15]
	v_add_co_u32_e32 v0, vcc, 0x1000, v0
	s_nop 1
	v_addc_co_u32_e32 v1, vcc, 0, v1, vcc
	global_store_dwordx2 v[0:1], v[2:3], off offset:2048
	s_endpgm
.LBB16_54:
	global_load_dwordx2 v[44:45], v[4:5], off
	s_or_b64 exec, exec, s[8:9]
                                        ; implicit-def: $vgpr46_vgpr47
	s_and_saveexec_b64 s[8:9], s[2:3]
	s_cbranch_execz .LBB16_13
.LBB16_55:
	global_load_dwordx2 v[46:47], v[4:5], off offset:512
	s_or_b64 exec, exec, s[8:9]
                                        ; implicit-def: $vgpr48_vgpr49
	s_and_saveexec_b64 s[2:3], s[4:5]
	s_cbranch_execz .LBB16_14
.LBB16_56:
	global_load_dwordx2 v[48:49], v[4:5], off offset:1024
	s_or_b64 exec, exec, s[2:3]
                                        ; implicit-def: $vgpr50_vgpr51
	s_and_saveexec_b64 s[2:3], s[6:7]
	s_cbranch_execnz .LBB16_15
	s_branch .LBB16_16
.LBB16_57:
	s_waitcnt lgkmcnt(1)
	global_store_dwordx2 v[8:9], v[4:5], off
	s_or_b64 exec, exec, s[6:7]
	s_and_saveexec_b64 s[6:7], s[0:1]
	s_cbranch_execz .LBB16_48
.LBB16_58:
	s_waitcnt lgkmcnt(1)
	global_store_dwordx2 v[8:9], v[6:7], off offset:2048
	s_or_b64 exec, exec, s[6:7]
	s_and_saveexec_b64 s[0:1], s[2:3]
	s_cbranch_execnz .LBB16_49
	s_branch .LBB16_50
	.section	.rodata,"a",@progbits
	.p2align	6, 0x0
	.amdhsa_kernel _ZN7rocprim17ROCPRIM_304000_NS6detail28radix_sort_block_sort_kernelINS1_36wrapped_radix_sort_block_sort_configINS0_13kernel_configILj256ELj4ELj4294967295EEEtN2at4cuda3cub6detail10OpaqueTypeILi8EEEEELb0EPKtPtPKSB_PSB_NS0_19identity_decomposerEEEvT1_T2_T3_T4_jT5_jj
		.amdhsa_group_segment_fixed_size 8192
		.amdhsa_private_segment_fixed_size 0
		.amdhsa_kernarg_size 304
		.amdhsa_user_sgpr_count 2
		.amdhsa_user_sgpr_dispatch_ptr 0
		.amdhsa_user_sgpr_queue_ptr 0
		.amdhsa_user_sgpr_kernarg_segment_ptr 1
		.amdhsa_user_sgpr_dispatch_id 0
		.amdhsa_user_sgpr_kernarg_preload_length 0
		.amdhsa_user_sgpr_kernarg_preload_offset 0
		.amdhsa_user_sgpr_private_segment_size 0
		.amdhsa_uses_dynamic_stack 0
		.amdhsa_enable_private_segment 0
		.amdhsa_system_sgpr_workgroup_id_x 1
		.amdhsa_system_sgpr_workgroup_id_y 0
		.amdhsa_system_sgpr_workgroup_id_z 0
		.amdhsa_system_sgpr_workgroup_info 0
		.amdhsa_system_vgpr_workitem_id 2
		.amdhsa_next_free_vgpr 52
		.amdhsa_next_free_sgpr 48
		.amdhsa_accum_offset 52
		.amdhsa_reserve_vcc 1
		.amdhsa_float_round_mode_32 0
		.amdhsa_float_round_mode_16_64 0
		.amdhsa_float_denorm_mode_32 3
		.amdhsa_float_denorm_mode_16_64 3
		.amdhsa_dx10_clamp 1
		.amdhsa_ieee_mode 1
		.amdhsa_fp16_overflow 0
		.amdhsa_tg_split 0
		.amdhsa_exception_fp_ieee_invalid_op 0
		.amdhsa_exception_fp_denorm_src 0
		.amdhsa_exception_fp_ieee_div_zero 0
		.amdhsa_exception_fp_ieee_overflow 0
		.amdhsa_exception_fp_ieee_underflow 0
		.amdhsa_exception_fp_ieee_inexact 0
		.amdhsa_exception_int_div_zero 0
	.end_amdhsa_kernel
	.section	.text._ZN7rocprim17ROCPRIM_304000_NS6detail28radix_sort_block_sort_kernelINS1_36wrapped_radix_sort_block_sort_configINS0_13kernel_configILj256ELj4ELj4294967295EEEtN2at4cuda3cub6detail10OpaqueTypeILi8EEEEELb0EPKtPtPKSB_PSB_NS0_19identity_decomposerEEEvT1_T2_T3_T4_jT5_jj,"axG",@progbits,_ZN7rocprim17ROCPRIM_304000_NS6detail28radix_sort_block_sort_kernelINS1_36wrapped_radix_sort_block_sort_configINS0_13kernel_configILj256ELj4ELj4294967295EEEtN2at4cuda3cub6detail10OpaqueTypeILi8EEEEELb0EPKtPtPKSB_PSB_NS0_19identity_decomposerEEEvT1_T2_T3_T4_jT5_jj,comdat
.Lfunc_end16:
	.size	_ZN7rocprim17ROCPRIM_304000_NS6detail28radix_sort_block_sort_kernelINS1_36wrapped_radix_sort_block_sort_configINS0_13kernel_configILj256ELj4ELj4294967295EEEtN2at4cuda3cub6detail10OpaqueTypeILi8EEEEELb0EPKtPtPKSB_PSB_NS0_19identity_decomposerEEEvT1_T2_T3_T4_jT5_jj, .Lfunc_end16-_ZN7rocprim17ROCPRIM_304000_NS6detail28radix_sort_block_sort_kernelINS1_36wrapped_radix_sort_block_sort_configINS0_13kernel_configILj256ELj4ELj4294967295EEEtN2at4cuda3cub6detail10OpaqueTypeILi8EEEEELb0EPKtPtPKSB_PSB_NS0_19identity_decomposerEEEvT1_T2_T3_T4_jT5_jj
                                        ; -- End function
	.set _ZN7rocprim17ROCPRIM_304000_NS6detail28radix_sort_block_sort_kernelINS1_36wrapped_radix_sort_block_sort_configINS0_13kernel_configILj256ELj4ELj4294967295EEEtN2at4cuda3cub6detail10OpaqueTypeILi8EEEEELb0EPKtPtPKSB_PSB_NS0_19identity_decomposerEEEvT1_T2_T3_T4_jT5_jj.num_vgpr, 52
	.set _ZN7rocprim17ROCPRIM_304000_NS6detail28radix_sort_block_sort_kernelINS1_36wrapped_radix_sort_block_sort_configINS0_13kernel_configILj256ELj4ELj4294967295EEEtN2at4cuda3cub6detail10OpaqueTypeILi8EEEEELb0EPKtPtPKSB_PSB_NS0_19identity_decomposerEEEvT1_T2_T3_T4_jT5_jj.num_agpr, 0
	.set _ZN7rocprim17ROCPRIM_304000_NS6detail28radix_sort_block_sort_kernelINS1_36wrapped_radix_sort_block_sort_configINS0_13kernel_configILj256ELj4ELj4294967295EEEtN2at4cuda3cub6detail10OpaqueTypeILi8EEEEELb0EPKtPtPKSB_PSB_NS0_19identity_decomposerEEEvT1_T2_T3_T4_jT5_jj.numbered_sgpr, 48
	.set _ZN7rocprim17ROCPRIM_304000_NS6detail28radix_sort_block_sort_kernelINS1_36wrapped_radix_sort_block_sort_configINS0_13kernel_configILj256ELj4ELj4294967295EEEtN2at4cuda3cub6detail10OpaqueTypeILi8EEEEELb0EPKtPtPKSB_PSB_NS0_19identity_decomposerEEEvT1_T2_T3_T4_jT5_jj.num_named_barrier, 0
	.set _ZN7rocprim17ROCPRIM_304000_NS6detail28radix_sort_block_sort_kernelINS1_36wrapped_radix_sort_block_sort_configINS0_13kernel_configILj256ELj4ELj4294967295EEEtN2at4cuda3cub6detail10OpaqueTypeILi8EEEEELb0EPKtPtPKSB_PSB_NS0_19identity_decomposerEEEvT1_T2_T3_T4_jT5_jj.private_seg_size, 0
	.set _ZN7rocprim17ROCPRIM_304000_NS6detail28radix_sort_block_sort_kernelINS1_36wrapped_radix_sort_block_sort_configINS0_13kernel_configILj256ELj4ELj4294967295EEEtN2at4cuda3cub6detail10OpaqueTypeILi8EEEEELb0EPKtPtPKSB_PSB_NS0_19identity_decomposerEEEvT1_T2_T3_T4_jT5_jj.uses_vcc, 1
	.set _ZN7rocprim17ROCPRIM_304000_NS6detail28radix_sort_block_sort_kernelINS1_36wrapped_radix_sort_block_sort_configINS0_13kernel_configILj256ELj4ELj4294967295EEEtN2at4cuda3cub6detail10OpaqueTypeILi8EEEEELb0EPKtPtPKSB_PSB_NS0_19identity_decomposerEEEvT1_T2_T3_T4_jT5_jj.uses_flat_scratch, 0
	.set _ZN7rocprim17ROCPRIM_304000_NS6detail28radix_sort_block_sort_kernelINS1_36wrapped_radix_sort_block_sort_configINS0_13kernel_configILj256ELj4ELj4294967295EEEtN2at4cuda3cub6detail10OpaqueTypeILi8EEEEELb0EPKtPtPKSB_PSB_NS0_19identity_decomposerEEEvT1_T2_T3_T4_jT5_jj.has_dyn_sized_stack, 0
	.set _ZN7rocprim17ROCPRIM_304000_NS6detail28radix_sort_block_sort_kernelINS1_36wrapped_radix_sort_block_sort_configINS0_13kernel_configILj256ELj4ELj4294967295EEEtN2at4cuda3cub6detail10OpaqueTypeILi8EEEEELb0EPKtPtPKSB_PSB_NS0_19identity_decomposerEEEvT1_T2_T3_T4_jT5_jj.has_recursion, 0
	.set _ZN7rocprim17ROCPRIM_304000_NS6detail28radix_sort_block_sort_kernelINS1_36wrapped_radix_sort_block_sort_configINS0_13kernel_configILj256ELj4ELj4294967295EEEtN2at4cuda3cub6detail10OpaqueTypeILi8EEEEELb0EPKtPtPKSB_PSB_NS0_19identity_decomposerEEEvT1_T2_T3_T4_jT5_jj.has_indirect_call, 0
	.section	.AMDGPU.csdata,"",@progbits
; Kernel info:
; codeLenInByte = 4020
; TotalNumSgprs: 54
; NumVgprs: 52
; NumAgprs: 0
; TotalNumVgprs: 52
; ScratchSize: 0
; MemoryBound: 0
; FloatMode: 240
; IeeeMode: 1
; LDSByteSize: 8192 bytes/workgroup (compile time only)
; SGPRBlocks: 6
; VGPRBlocks: 6
; NumSGPRsForWavesPerEU: 54
; NumVGPRsForWavesPerEU: 52
; AccumOffset: 52
; Occupancy: 8
; WaveLimiterHint : 1
; COMPUTE_PGM_RSRC2:SCRATCH_EN: 0
; COMPUTE_PGM_RSRC2:USER_SGPR: 2
; COMPUTE_PGM_RSRC2:TRAP_HANDLER: 0
; COMPUTE_PGM_RSRC2:TGID_X_EN: 1
; COMPUTE_PGM_RSRC2:TGID_Y_EN: 0
; COMPUTE_PGM_RSRC2:TGID_Z_EN: 0
; COMPUTE_PGM_RSRC2:TIDIG_COMP_CNT: 2
; COMPUTE_PGM_RSRC3_GFX90A:ACCUM_OFFSET: 12
; COMPUTE_PGM_RSRC3_GFX90A:TG_SPLIT: 0
	.section	.text._ZN7rocprim17ROCPRIM_304000_NS6detail45device_block_merge_mergepath_partition_kernelINS1_37wrapped_merge_sort_block_merge_configINS0_14default_configEtN2at4cuda3cub6detail10OpaqueTypeILi8EEEEEPtjNS1_19radix_merge_compareILb0ELb0EtNS0_19identity_decomposerEEEEEvT0_T1_jPSH_T2_SH_,"axG",@progbits,_ZN7rocprim17ROCPRIM_304000_NS6detail45device_block_merge_mergepath_partition_kernelINS1_37wrapped_merge_sort_block_merge_configINS0_14default_configEtN2at4cuda3cub6detail10OpaqueTypeILi8EEEEEPtjNS1_19radix_merge_compareILb0ELb0EtNS0_19identity_decomposerEEEEEvT0_T1_jPSH_T2_SH_,comdat
	.protected	_ZN7rocprim17ROCPRIM_304000_NS6detail45device_block_merge_mergepath_partition_kernelINS1_37wrapped_merge_sort_block_merge_configINS0_14default_configEtN2at4cuda3cub6detail10OpaqueTypeILi8EEEEEPtjNS1_19radix_merge_compareILb0ELb0EtNS0_19identity_decomposerEEEEEvT0_T1_jPSH_T2_SH_ ; -- Begin function _ZN7rocprim17ROCPRIM_304000_NS6detail45device_block_merge_mergepath_partition_kernelINS1_37wrapped_merge_sort_block_merge_configINS0_14default_configEtN2at4cuda3cub6detail10OpaqueTypeILi8EEEEEPtjNS1_19radix_merge_compareILb0ELb0EtNS0_19identity_decomposerEEEEEvT0_T1_jPSH_T2_SH_
	.globl	_ZN7rocprim17ROCPRIM_304000_NS6detail45device_block_merge_mergepath_partition_kernelINS1_37wrapped_merge_sort_block_merge_configINS0_14default_configEtN2at4cuda3cub6detail10OpaqueTypeILi8EEEEEPtjNS1_19radix_merge_compareILb0ELb0EtNS0_19identity_decomposerEEEEEvT0_T1_jPSH_T2_SH_
	.p2align	8
	.type	_ZN7rocprim17ROCPRIM_304000_NS6detail45device_block_merge_mergepath_partition_kernelINS1_37wrapped_merge_sort_block_merge_configINS0_14default_configEtN2at4cuda3cub6detail10OpaqueTypeILi8EEEEEPtjNS1_19radix_merge_compareILb0ELb0EtNS0_19identity_decomposerEEEEEvT0_T1_jPSH_T2_SH_,@function
_ZN7rocprim17ROCPRIM_304000_NS6detail45device_block_merge_mergepath_partition_kernelINS1_37wrapped_merge_sort_block_merge_configINS0_14default_configEtN2at4cuda3cub6detail10OpaqueTypeILi8EEEEEPtjNS1_19radix_merge_compareILb0ELb0EtNS0_19identity_decomposerEEEEEvT0_T1_jPSH_T2_SH_: ; @_ZN7rocprim17ROCPRIM_304000_NS6detail45device_block_merge_mergepath_partition_kernelINS1_37wrapped_merge_sort_block_merge_configINS0_14default_configEtN2at4cuda3cub6detail10OpaqueTypeILi8EEEEEPtjNS1_19radix_merge_compareILb0ELb0EtNS0_19identity_decomposerEEEEEvT0_T1_jPSH_T2_SH_
; %bb.0:
	s_load_dwordx2 s[4:5], s[0:1], 0x8
	v_lshl_or_b32 v0, s2, 7, v0
	s_waitcnt lgkmcnt(0)
	v_cmp_gt_u32_e32 vcc, s5, v0
	s_and_saveexec_b64 s[2:3], vcc
	s_cbranch_execz .LBB17_6
; %bb.1:
	s_load_dword s2, s[0:1], 0x1c
	s_waitcnt lgkmcnt(0)
	s_lshr_b32 s3, s2, 9
	s_and_b32 s3, s3, 0x7ffffe
	s_add_i32 s5, s3, -1
	s_sub_i32 s3, 0, s3
	v_and_b32_e32 v1, s3, v0
	v_and_b32_e32 v2, s5, v0
	v_lshlrev_b32_e32 v1, 10, v1
	v_lshlrev_b32_e32 v3, 10, v2
	v_min_u32_e32 v2, s4, v1
	v_add_u32_e32 v1, s2, v1
	v_min_u32_e32 v4, s4, v1
	v_add_u32_e32 v1, s2, v4
	v_min_u32_e32 v1, s4, v1
	v_sub_u32_e32 v5, v1, v2
	v_min_u32_e32 v10, v5, v3
	v_sub_u32_e32 v3, v4, v2
	v_sub_u32_e32 v1, v1, v4
	v_sub_u32_e64 v1, v10, v1 clamp
	v_min_u32_e32 v11, v10, v3
	v_cmp_lt_u32_e32 vcc, v1, v11
	s_and_saveexec_b64 s[2:3], vcc
	s_cbranch_execz .LBB17_5
; %bb.2:
	s_load_dwordx2 s[4:5], s[0:1], 0x0
	v_mov_b32_e32 v5, 0
	v_mov_b32_e32 v3, v5
	s_waitcnt lgkmcnt(0)
	v_lshl_add_u64 v[6:7], v[2:3], 1, s[4:5]
	v_lshl_add_u64 v[8:9], v[4:5], 1, s[4:5]
	s_mov_b64 s[4:5], 0
.LBB17_3:                               ; =>This Inner Loop Header: Depth=1
	v_add_u32_e32 v3, v11, v1
	v_lshrrev_b32_e32 v16, 1, v3
	v_and_b32_e32 v4, -2, v3
	v_mov_b32_e32 v13, v5
	v_xad_u32 v12, v16, -1, v10
	v_lshl_add_u64 v[14:15], v[6:7], 0, v[4:5]
	v_lshl_add_u64 v[12:13], v[12:13], 1, v[8:9]
	global_load_ushort v3, v[14:15], off
	global_load_ushort v4, v[12:13], off
	v_add_u32_e32 v12, 1, v16
	s_waitcnt vmcnt(0)
	v_cmp_gt_u16_e32 vcc, v3, v4
	s_nop 1
	v_cndmask_b32_e32 v11, v11, v16, vcc
	v_cndmask_b32_e32 v1, v12, v1, vcc
	v_cmp_ge_u32_e32 vcc, v1, v11
	s_or_b64 s[4:5], vcc, s[4:5]
	s_andn2_b64 exec, exec, s[4:5]
	s_cbranch_execnz .LBB17_3
; %bb.4:
	s_or_b64 exec, exec, s[4:5]
.LBB17_5:
	s_or_b64 exec, exec, s[2:3]
	s_load_dwordx2 s[0:1], s[0:1], 0x10
	v_add_u32_e32 v2, v1, v2
	v_mov_b32_e32 v1, 0
	s_waitcnt lgkmcnt(0)
	v_lshl_add_u64 v[0:1], v[0:1], 2, s[0:1]
	global_store_dword v[0:1], v2, off
.LBB17_6:
	s_endpgm
	.section	.rodata,"a",@progbits
	.p2align	6, 0x0
	.amdhsa_kernel _ZN7rocprim17ROCPRIM_304000_NS6detail45device_block_merge_mergepath_partition_kernelINS1_37wrapped_merge_sort_block_merge_configINS0_14default_configEtN2at4cuda3cub6detail10OpaqueTypeILi8EEEEEPtjNS1_19radix_merge_compareILb0ELb0EtNS0_19identity_decomposerEEEEEvT0_T1_jPSH_T2_SH_
		.amdhsa_group_segment_fixed_size 0
		.amdhsa_private_segment_fixed_size 0
		.amdhsa_kernarg_size 32
		.amdhsa_user_sgpr_count 2
		.amdhsa_user_sgpr_dispatch_ptr 0
		.amdhsa_user_sgpr_queue_ptr 0
		.amdhsa_user_sgpr_kernarg_segment_ptr 1
		.amdhsa_user_sgpr_dispatch_id 0
		.amdhsa_user_sgpr_kernarg_preload_length 0
		.amdhsa_user_sgpr_kernarg_preload_offset 0
		.amdhsa_user_sgpr_private_segment_size 0
		.amdhsa_uses_dynamic_stack 0
		.amdhsa_enable_private_segment 0
		.amdhsa_system_sgpr_workgroup_id_x 1
		.amdhsa_system_sgpr_workgroup_id_y 0
		.amdhsa_system_sgpr_workgroup_id_z 0
		.amdhsa_system_sgpr_workgroup_info 0
		.amdhsa_system_vgpr_workitem_id 0
		.amdhsa_next_free_vgpr 17
		.amdhsa_next_free_sgpr 6
		.amdhsa_accum_offset 20
		.amdhsa_reserve_vcc 1
		.amdhsa_float_round_mode_32 0
		.amdhsa_float_round_mode_16_64 0
		.amdhsa_float_denorm_mode_32 3
		.amdhsa_float_denorm_mode_16_64 3
		.amdhsa_dx10_clamp 1
		.amdhsa_ieee_mode 1
		.amdhsa_fp16_overflow 0
		.amdhsa_tg_split 0
		.amdhsa_exception_fp_ieee_invalid_op 0
		.amdhsa_exception_fp_denorm_src 0
		.amdhsa_exception_fp_ieee_div_zero 0
		.amdhsa_exception_fp_ieee_overflow 0
		.amdhsa_exception_fp_ieee_underflow 0
		.amdhsa_exception_fp_ieee_inexact 0
		.amdhsa_exception_int_div_zero 0
	.end_amdhsa_kernel
	.section	.text._ZN7rocprim17ROCPRIM_304000_NS6detail45device_block_merge_mergepath_partition_kernelINS1_37wrapped_merge_sort_block_merge_configINS0_14default_configEtN2at4cuda3cub6detail10OpaqueTypeILi8EEEEEPtjNS1_19radix_merge_compareILb0ELb0EtNS0_19identity_decomposerEEEEEvT0_T1_jPSH_T2_SH_,"axG",@progbits,_ZN7rocprim17ROCPRIM_304000_NS6detail45device_block_merge_mergepath_partition_kernelINS1_37wrapped_merge_sort_block_merge_configINS0_14default_configEtN2at4cuda3cub6detail10OpaqueTypeILi8EEEEEPtjNS1_19radix_merge_compareILb0ELb0EtNS0_19identity_decomposerEEEEEvT0_T1_jPSH_T2_SH_,comdat
.Lfunc_end17:
	.size	_ZN7rocprim17ROCPRIM_304000_NS6detail45device_block_merge_mergepath_partition_kernelINS1_37wrapped_merge_sort_block_merge_configINS0_14default_configEtN2at4cuda3cub6detail10OpaqueTypeILi8EEEEEPtjNS1_19radix_merge_compareILb0ELb0EtNS0_19identity_decomposerEEEEEvT0_T1_jPSH_T2_SH_, .Lfunc_end17-_ZN7rocprim17ROCPRIM_304000_NS6detail45device_block_merge_mergepath_partition_kernelINS1_37wrapped_merge_sort_block_merge_configINS0_14default_configEtN2at4cuda3cub6detail10OpaqueTypeILi8EEEEEPtjNS1_19radix_merge_compareILb0ELb0EtNS0_19identity_decomposerEEEEEvT0_T1_jPSH_T2_SH_
                                        ; -- End function
	.set _ZN7rocprim17ROCPRIM_304000_NS6detail45device_block_merge_mergepath_partition_kernelINS1_37wrapped_merge_sort_block_merge_configINS0_14default_configEtN2at4cuda3cub6detail10OpaqueTypeILi8EEEEEPtjNS1_19radix_merge_compareILb0ELb0EtNS0_19identity_decomposerEEEEEvT0_T1_jPSH_T2_SH_.num_vgpr, 17
	.set _ZN7rocprim17ROCPRIM_304000_NS6detail45device_block_merge_mergepath_partition_kernelINS1_37wrapped_merge_sort_block_merge_configINS0_14default_configEtN2at4cuda3cub6detail10OpaqueTypeILi8EEEEEPtjNS1_19radix_merge_compareILb0ELb0EtNS0_19identity_decomposerEEEEEvT0_T1_jPSH_T2_SH_.num_agpr, 0
	.set _ZN7rocprim17ROCPRIM_304000_NS6detail45device_block_merge_mergepath_partition_kernelINS1_37wrapped_merge_sort_block_merge_configINS0_14default_configEtN2at4cuda3cub6detail10OpaqueTypeILi8EEEEEPtjNS1_19radix_merge_compareILb0ELb0EtNS0_19identity_decomposerEEEEEvT0_T1_jPSH_T2_SH_.numbered_sgpr, 6
	.set _ZN7rocprim17ROCPRIM_304000_NS6detail45device_block_merge_mergepath_partition_kernelINS1_37wrapped_merge_sort_block_merge_configINS0_14default_configEtN2at4cuda3cub6detail10OpaqueTypeILi8EEEEEPtjNS1_19radix_merge_compareILb0ELb0EtNS0_19identity_decomposerEEEEEvT0_T1_jPSH_T2_SH_.num_named_barrier, 0
	.set _ZN7rocprim17ROCPRIM_304000_NS6detail45device_block_merge_mergepath_partition_kernelINS1_37wrapped_merge_sort_block_merge_configINS0_14default_configEtN2at4cuda3cub6detail10OpaqueTypeILi8EEEEEPtjNS1_19radix_merge_compareILb0ELb0EtNS0_19identity_decomposerEEEEEvT0_T1_jPSH_T2_SH_.private_seg_size, 0
	.set _ZN7rocprim17ROCPRIM_304000_NS6detail45device_block_merge_mergepath_partition_kernelINS1_37wrapped_merge_sort_block_merge_configINS0_14default_configEtN2at4cuda3cub6detail10OpaqueTypeILi8EEEEEPtjNS1_19radix_merge_compareILb0ELb0EtNS0_19identity_decomposerEEEEEvT0_T1_jPSH_T2_SH_.uses_vcc, 1
	.set _ZN7rocprim17ROCPRIM_304000_NS6detail45device_block_merge_mergepath_partition_kernelINS1_37wrapped_merge_sort_block_merge_configINS0_14default_configEtN2at4cuda3cub6detail10OpaqueTypeILi8EEEEEPtjNS1_19radix_merge_compareILb0ELb0EtNS0_19identity_decomposerEEEEEvT0_T1_jPSH_T2_SH_.uses_flat_scratch, 0
	.set _ZN7rocprim17ROCPRIM_304000_NS6detail45device_block_merge_mergepath_partition_kernelINS1_37wrapped_merge_sort_block_merge_configINS0_14default_configEtN2at4cuda3cub6detail10OpaqueTypeILi8EEEEEPtjNS1_19radix_merge_compareILb0ELb0EtNS0_19identity_decomposerEEEEEvT0_T1_jPSH_T2_SH_.has_dyn_sized_stack, 0
	.set _ZN7rocprim17ROCPRIM_304000_NS6detail45device_block_merge_mergepath_partition_kernelINS1_37wrapped_merge_sort_block_merge_configINS0_14default_configEtN2at4cuda3cub6detail10OpaqueTypeILi8EEEEEPtjNS1_19radix_merge_compareILb0ELb0EtNS0_19identity_decomposerEEEEEvT0_T1_jPSH_T2_SH_.has_recursion, 0
	.set _ZN7rocprim17ROCPRIM_304000_NS6detail45device_block_merge_mergepath_partition_kernelINS1_37wrapped_merge_sort_block_merge_configINS0_14default_configEtN2at4cuda3cub6detail10OpaqueTypeILi8EEEEEPtjNS1_19radix_merge_compareILb0ELb0EtNS0_19identity_decomposerEEEEEvT0_T1_jPSH_T2_SH_.has_indirect_call, 0
	.section	.AMDGPU.csdata,"",@progbits
; Kernel info:
; codeLenInByte = 324
; TotalNumSgprs: 12
; NumVgprs: 17
; NumAgprs: 0
; TotalNumVgprs: 17
; ScratchSize: 0
; MemoryBound: 0
; FloatMode: 240
; IeeeMode: 1
; LDSByteSize: 0 bytes/workgroup (compile time only)
; SGPRBlocks: 1
; VGPRBlocks: 2
; NumSGPRsForWavesPerEU: 12
; NumVGPRsForWavesPerEU: 17
; AccumOffset: 20
; Occupancy: 8
; WaveLimiterHint : 0
; COMPUTE_PGM_RSRC2:SCRATCH_EN: 0
; COMPUTE_PGM_RSRC2:USER_SGPR: 2
; COMPUTE_PGM_RSRC2:TRAP_HANDLER: 0
; COMPUTE_PGM_RSRC2:TGID_X_EN: 1
; COMPUTE_PGM_RSRC2:TGID_Y_EN: 0
; COMPUTE_PGM_RSRC2:TGID_Z_EN: 0
; COMPUTE_PGM_RSRC2:TIDIG_COMP_CNT: 0
; COMPUTE_PGM_RSRC3_GFX90A:ACCUM_OFFSET: 4
; COMPUTE_PGM_RSRC3_GFX90A:TG_SPLIT: 0
	.section	.text._ZN7rocprim17ROCPRIM_304000_NS6detail35device_block_merge_mergepath_kernelINS1_37wrapped_merge_sort_block_merge_configINS0_14default_configEtN2at4cuda3cub6detail10OpaqueTypeILi8EEEEEPtSC_PSA_SD_jNS1_19radix_merge_compareILb0ELb0EtNS0_19identity_decomposerEEEEEvT0_T1_T2_T3_T4_SL_jT5_PKSL_NS1_7vsmem_tE,"axG",@progbits,_ZN7rocprim17ROCPRIM_304000_NS6detail35device_block_merge_mergepath_kernelINS1_37wrapped_merge_sort_block_merge_configINS0_14default_configEtN2at4cuda3cub6detail10OpaqueTypeILi8EEEEEPtSC_PSA_SD_jNS1_19radix_merge_compareILb0ELb0EtNS0_19identity_decomposerEEEEEvT0_T1_T2_T3_T4_SL_jT5_PKSL_NS1_7vsmem_tE,comdat
	.protected	_ZN7rocprim17ROCPRIM_304000_NS6detail35device_block_merge_mergepath_kernelINS1_37wrapped_merge_sort_block_merge_configINS0_14default_configEtN2at4cuda3cub6detail10OpaqueTypeILi8EEEEEPtSC_PSA_SD_jNS1_19radix_merge_compareILb0ELb0EtNS0_19identity_decomposerEEEEEvT0_T1_T2_T3_T4_SL_jT5_PKSL_NS1_7vsmem_tE ; -- Begin function _ZN7rocprim17ROCPRIM_304000_NS6detail35device_block_merge_mergepath_kernelINS1_37wrapped_merge_sort_block_merge_configINS0_14default_configEtN2at4cuda3cub6detail10OpaqueTypeILi8EEEEEPtSC_PSA_SD_jNS1_19radix_merge_compareILb0ELb0EtNS0_19identity_decomposerEEEEEvT0_T1_T2_T3_T4_SL_jT5_PKSL_NS1_7vsmem_tE
	.globl	_ZN7rocprim17ROCPRIM_304000_NS6detail35device_block_merge_mergepath_kernelINS1_37wrapped_merge_sort_block_merge_configINS0_14default_configEtN2at4cuda3cub6detail10OpaqueTypeILi8EEEEEPtSC_PSA_SD_jNS1_19radix_merge_compareILb0ELb0EtNS0_19identity_decomposerEEEEEvT0_T1_T2_T3_T4_SL_jT5_PKSL_NS1_7vsmem_tE
	.p2align	8
	.type	_ZN7rocprim17ROCPRIM_304000_NS6detail35device_block_merge_mergepath_kernelINS1_37wrapped_merge_sort_block_merge_configINS0_14default_configEtN2at4cuda3cub6detail10OpaqueTypeILi8EEEEEPtSC_PSA_SD_jNS1_19radix_merge_compareILb0ELb0EtNS0_19identity_decomposerEEEEEvT0_T1_T2_T3_T4_SL_jT5_PKSL_NS1_7vsmem_tE,@function
_ZN7rocprim17ROCPRIM_304000_NS6detail35device_block_merge_mergepath_kernelINS1_37wrapped_merge_sort_block_merge_configINS0_14default_configEtN2at4cuda3cub6detail10OpaqueTypeILi8EEEEEPtSC_PSA_SD_jNS1_19radix_merge_compareILb0ELb0EtNS0_19identity_decomposerEEEEEvT0_T1_T2_T3_T4_SL_jT5_PKSL_NS1_7vsmem_tE: ; @_ZN7rocprim17ROCPRIM_304000_NS6detail35device_block_merge_mergepath_kernelINS1_37wrapped_merge_sort_block_merge_configINS0_14default_configEtN2at4cuda3cub6detail10OpaqueTypeILi8EEEEEPtSC_PSA_SD_jNS1_19radix_merge_compareILb0ELb0EtNS0_19identity_decomposerEEEEEvT0_T1_T2_T3_T4_SL_jT5_PKSL_NS1_7vsmem_tE
; %bb.0:
	s_load_dwordx2 s[26:27], s[0:1], 0x40
	s_load_dwordx4 s[12:15], s[0:1], 0x20
	s_add_u32 s24, s0, 64
	s_addc_u32 s25, s1, 0
	s_waitcnt lgkmcnt(0)
	s_mul_i32 s4, s27, s4
	s_add_i32 s3, s4, s3
	s_mul_i32 s3, s3, s26
	s_add_i32 s22, s3, s2
	s_cmp_ge_u32 s22, s14
	s_cbranch_scc1 .LBB18_51
; %bb.1:
	s_load_dwordx8 s[4:11], s[0:1], 0x0
	s_load_dwordx2 s[14:15], s[0:1], 0x30
	s_lshr_b32 s30, s12, 10
	s_cmp_lg_u32 s22, s30
	s_mov_b32 s23, 0
	s_cselect_b64 s[16:17], -1, 0
	s_lshl_b64 s[0:1], s[22:23], 2
	s_waitcnt lgkmcnt(0)
	s_add_u32 s0, s14, s0
	s_addc_u32 s1, s15, s1
	s_load_dwordx2 s[18:19], s[0:1], 0x0
	s_lshr_b32 s0, s13, 9
	s_and_b32 s0, s0, 0x7ffffe
	s_sub_i32 s0, 0, s0
	s_and_b32 s1, s22, s0
	s_lshl_b32 s3, s1, 10
	s_lshl_b32 s14, s22, 10
	;; [unrolled: 1-line block ×3, first 2 shown]
	s_sub_i32 s15, s14, s3
	s_add_i32 s1, s1, s13
	s_add_i32 s15, s1, s15
	s_waitcnt lgkmcnt(0)
	s_sub_i32 s20, s15, s18
	s_sub_i32 s15, s15, s19
	;; [unrolled: 1-line block ×3, first 2 shown]
	s_min_u32 s20, s12, s20
	s_addk_i32 s15, 0x400
	s_or_b32 s0, s22, s0
	s_min_u32 s3, s12, s1
	s_add_i32 s1, s1, s13
	s_cmp_eq_u32 s0, -1
	s_cselect_b32 s0, s1, s15
	s_cselect_b32 s1, s3, s19
	s_min_u32 s0, s0, s12
	s_mov_b32 s19, s23
	s_sub_i32 s15, s1, s18
	s_sub_i32 s27, s0, s20
	s_lshl_b64 s[0:1], s[18:19], 1
	s_add_u32 s0, s4, s0
	s_mov_b32 s21, s23
	s_addc_u32 s1, s5, s1
	s_lshl_b64 s[28:29], s[20:21], 1
	s_add_u32 s4, s4, s28
	s_addc_u32 s5, s5, s29
	s_cmp_lt_u32 s2, s26
	v_mov_b32_e32 v3, 0
	s_cselect_b32 s2, 12, 18
	global_load_dword v1, v3, s[24:25] offset:14
	s_add_u32 s2, s24, s2
	s_addc_u32 s3, s25, 0
	global_load_ushort v2, v3, s[2:3]
	v_cmp_gt_u32_e32 vcc, s15, v0
	s_cmp_eq_u32 s22, s30
	s_waitcnt vmcnt(1)
	v_lshrrev_b32_e32 v4, 16, v1
	v_and_b32_e32 v1, 0xffff, v1
	v_mul_lo_u32 v1, v1, v4
	s_waitcnt vmcnt(0)
	v_mul_lo_u32 v1, v1, v2
	v_lshlrev_b32_e32 v2, 1, v0
	v_add_u32_e32 v4, v1, v0
	s_cbranch_scc1 .LBB18_3
; %bb.2:
	v_subrev_u32_e32 v1, s15, v0
	v_lshlrev_b32_e32 v8, 1, v1
	v_mov_b32_e32 v9, v3
	v_lshl_add_u64 v[6:7], s[0:1], 0, v[2:3]
	v_lshl_add_u64 v[8:9], s[4:5], 0, v[8:9]
	v_cndmask_b32_e32 v7, v9, v7, vcc
	v_cndmask_b32_e32 v6, v8, v6, vcc
	v_mov_b32_e32 v5, v3
	v_subrev_co_u32_e32 v8, vcc, s15, v4
	v_mov_b32_e32 v9, v3
	global_load_ushort v1, v[6:7], off
	v_lshl_add_u64 v[6:7], v[4:5], 1, s[0:1]
	v_lshl_add_u64 v[8:9], v[8:9], 1, s[4:5]
	v_cndmask_b32_e32 v7, v9, v7, vcc
	v_cndmask_b32_e32 v6, v8, v6, vcc
	global_load_ushort v3, v[6:7], off
	s_mov_b32 s2, 0x5040100
	s_add_i32 s13, s27, s15
	s_waitcnt vmcnt(0)
	v_perm_b32 v1, v3, v1, s2
	s_cbranch_execz .LBB18_4
	s_branch .LBB18_9
.LBB18_3:
                                        ; implicit-def: $vgpr1
                                        ; implicit-def: $sgpr13
.LBB18_4:
	s_add_i32 s13, s27, s15
	v_cmp_gt_u32_e32 vcc, s13, v0
	v_mov_b32_e32 v1, 0
	s_and_saveexec_b64 s[2:3], vcc
	s_cbranch_execz .LBB18_6
; %bb.5:
	v_mov_b32_e32 v3, 0
	v_subrev_u32_e32 v1, s15, v0
	v_lshlrev_b32_e32 v8, 1, v1
	v_mov_b32_e32 v9, v3
	v_lshl_add_u64 v[6:7], s[0:1], 0, v[2:3]
	v_lshl_add_u64 v[8:9], s[4:5], 0, v[8:9]
	v_cmp_gt_u32_e32 vcc, s15, v0
	s_nop 1
	v_cndmask_b32_e32 v7, v9, v7, vcc
	v_cndmask_b32_e32 v6, v8, v6, vcc
	global_load_ushort v1, v[6:7], off
	s_waitcnt vmcnt(0)
	v_and_b32_e32 v1, 0xffff, v1
.LBB18_6:
	s_or_b64 exec, exec, s[2:3]
	v_cmp_gt_u32_e32 vcc, s13, v4
	s_and_saveexec_b64 s[2:3], vcc
	s_cbranch_execz .LBB18_8
; %bb.7:
	v_mov_b32_e32 v5, 0
	v_lshl_add_u64 v[6:7], v[4:5], 1, s[0:1]
	v_subrev_co_u32_e32 v4, vcc, s15, v4
	v_lshl_add_u64 v[4:5], v[4:5], 1, s[4:5]
	s_nop 0
	v_cndmask_b32_e32 v5, v5, v7, vcc
	v_cndmask_b32_e32 v4, v4, v6, vcc
	global_load_ushort v3, v[4:5], off
	s_mov_b32 s0, 0x5040100
	s_waitcnt vmcnt(0)
	v_perm_b32 v1, v3, v1, s0
.LBB18_8:
	s_or_b64 exec, exec, s[2:3]
.LBB18_9:
	v_min_u32_e32 v3, s13, v2
	v_sub_u32_e64 v4, v3, s27 clamp
	v_min_u32_e32 v5, s15, v3
	v_cmp_lt_u32_e32 vcc, v4, v5
	ds_write_b16 v2, v1
	ds_write_b16_d16_hi v2, v1 offset:1024
	s_waitcnt lgkmcnt(0)
	s_barrier
	s_and_saveexec_b64 s[0:1], vcc
	s_cbranch_execz .LBB18_13
; %bb.10:
	v_lshlrev_b32_e32 v6, 1, v3
	v_lshl_add_u32 v6, s15, 1, v6
	s_mov_b64 s[2:3], 0
.LBB18_11:                              ; =>This Inner Loop Header: Depth=1
	v_add_u32_e32 v7, v5, v4
	v_lshrrev_b32_e32 v8, 1, v7
	v_not_b32_e32 v9, v8
	v_and_b32_e32 v7, -2, v7
	v_lshl_add_u32 v9, v9, 1, v6
	ds_read_u16 v7, v7
	ds_read_u16 v9, v9
	v_add_u32_e32 v10, 1, v8
	s_waitcnt lgkmcnt(0)
	v_cmp_gt_u16_e32 vcc, v7, v9
	s_nop 1
	v_cndmask_b32_e32 v5, v5, v8, vcc
	v_cndmask_b32_e32 v4, v10, v4, vcc
	v_cmp_ge_u32_e32 vcc, v4, v5
	s_or_b64 s[2:3], vcc, s[2:3]
	s_andn2_b64 exec, exec, s[2:3]
	s_cbranch_execnz .LBB18_11
; %bb.12:
	s_or_b64 exec, exec, s[2:3]
.LBB18_13:
	s_or_b64 exec, exec, s[0:1]
	v_sub_u32_e32 v3, v3, v4
	v_add_u32_e32 v5, s15, v3
	v_cmp_ge_u32_e32 vcc, s15, v4
	v_cmp_ge_u32_e64 s[0:1], s13, v5
	s_or_b64 s[0:1], vcc, s[0:1]
	v_mov_b32_e32 v3, 0
	v_mov_b32_e32 v8, 0
	s_and_saveexec_b64 s[4:5], s[0:1]
	s_cbranch_execz .LBB18_19
; %bb.14:
	v_cmp_gt_u32_e32 vcc, s15, v4
                                        ; implicit-def: $vgpr1
	s_and_saveexec_b64 s[0:1], vcc
; %bb.15:
	v_lshlrev_b32_e32 v1, 1, v4
	ds_read_u16 v1, v1
; %bb.16:
	s_or_b64 exec, exec, s[0:1]
	v_cmp_le_u32_e64 s[0:1], s13, v5
	v_cmp_gt_u32_e64 s[2:3], s13, v5
                                        ; implicit-def: $vgpr3
	s_and_saveexec_b64 s[22:23], s[2:3]
; %bb.17:
	v_lshlrev_b32_e32 v3, 1, v5
	ds_read_u16 v3, v3
; %bb.18:
	s_or_b64 exec, exec, s[22:23]
	s_waitcnt lgkmcnt(0)
	v_cmp_le_u16_e64 s[2:3], v1, v3
	s_and_b64 s[2:3], vcc, s[2:3]
	s_or_b64 vcc, s[0:1], s[2:3]
	v_mov_b32_e32 v6, s13
	v_mov_b32_e32 v7, s15
	v_cndmask_b32_e32 v8, v5, v4, vcc
	v_cndmask_b32_e32 v6, v6, v7, vcc
	v_add_u32_e32 v7, 1, v8
	v_add_u32_e32 v6, -1, v6
	v_min_u32_e32 v6, v7, v6
	v_lshlrev_b32_e32 v6, 1, v6
	ds_read_u16 v6, v6
	v_cndmask_b32_e32 v9, v3, v1, vcc
	v_cndmask_b32_e32 v4, v4, v7, vcc
	v_cmp_gt_u32_e64 s[0:1], s15, v4
	s_waitcnt lgkmcnt(0)
	v_cndmask_b32_e32 v10, v6, v3, vcc
	v_cndmask_b32_e32 v1, v1, v6, vcc
	;; [unrolled: 1-line block ×3, first 2 shown]
	v_cmp_le_u16_e64 s[2:3], v1, v10
	v_cmp_le_u32_e32 vcc, s13, v3
	s_and_b64 s[0:1], s[0:1], s[2:3]
	s_or_b64 vcc, vcc, s[0:1]
	v_cndmask_b32_e32 v1, v10, v1, vcc
	s_mov_b32 s0, 0x5040100
	v_cndmask_b32_e32 v3, v3, v4, vcc
	v_perm_b32 v1, v1, v9, s0
.LBB18_19:
	s_or_b64 exec, exec, s[4:5]
	s_lshl_b64 s[0:1], s[18:19], 3
	s_add_u32 s18, s8, s0
	s_addc_u32 s19, s9, s1
	s_lshl_b64 s[0:1], s[20:21], 3
	s_add_u32 s8, s8, s0
	v_cndmask_b32_e64 v4, 0, 1, s[16:17]
	v_mov_b32_e32 v5, 0
	s_addc_u32 s9, s9, s1
	v_cmp_gt_u32_e64 s[4:5], s15, v0
	v_cmp_ne_u32_e64 s[0:1], 1, v4
	s_andn2_b64 vcc, exec, s[16:17]
	v_cmp_le_u32_e64 s[2:3], s15, v0
	s_barrier
	s_cbranch_vccnz .LBB18_21
; %bb.20:
	v_lshlrev_b32_e32 v4, 3, v0
	v_lshl_add_u64 v[6:7], s[18:19], 0, v[4:5]
	v_subrev_u32_e32 v4, s15, v0
	v_lshlrev_b32_e32 v4, 3, v4
	v_lshl_add_u64 v[4:5], s[8:9], 0, v[4:5]
	v_cndmask_b32_e64 v5, v5, v7, s[4:5]
	v_cndmask_b32_e64 v4, v4, v6, s[4:5]
	global_load_dwordx2 v[10:11], v[4:5], off
	v_or_b32_e32 v9, 0x200, v0
	v_mov_b32_e32 v4, s9
	v_mov_b32_e32 v5, s19
	;; [unrolled: 1-line block ×4, first 2 shown]
	v_subrev_u32_e32 v6, s15, v9
	v_cmp_gt_u32_e32 vcc, s15, v9
	v_mad_u32_u24 v7, v0, 6, v2
	s_nop 0
	v_cndmask_b32_e32 v5, v4, v5, vcc
	v_min_u32_e32 v6, v9, v6
	v_cndmask_b32_e32 v4, v12, v13, vcc
	s_mov_b64 s[4:5], -1
	s_waitcnt vmcnt(0)
	ds_write_b64 v7, v[10:11]
	s_cbranch_execz .LBB18_22
	s_branch .LBB18_31
.LBB18_21:
	s_mov_b64 s[4:5], 0
                                        ; implicit-def: $vgpr9
                                        ; implicit-def: $vgpr4_vgpr5
                                        ; implicit-def: $vgpr6
.LBB18_22:
	s_and_saveexec_b64 s[4:5], s[2:3]
	s_xor_b64 s[2:3], exec, s[4:5]
	s_cbranch_execz .LBB18_26
; %bb.23:
	v_subrev_u32_e32 v4, s15, v0
	v_cmp_gt_u32_e32 vcc, s27, v4
	s_and_saveexec_b64 s[4:5], vcc
	s_cbranch_execz .LBB18_25
; %bb.24:
	v_lshlrev_b32_e32 v4, 3, v4
	global_load_dwordx2 v[4:5], v4, s[8:9]
	v_mad_u32_u24 v6, v0, 6, v2
	s_waitcnt vmcnt(0)
	ds_write_b64 v6, v[4:5]
.LBB18_25:
	s_or_b64 exec, exec, s[4:5]
.LBB18_26:
	s_andn2_saveexec_b64 s[2:3], s[2:3]
	s_cbranch_execz .LBB18_28
; %bb.27:
	v_lshlrev_b32_e32 v4, 3, v0
	global_load_dwordx2 v[4:5], v4, s[18:19]
	v_mad_u32_u24 v6, v0, 6, v2
	s_waitcnt vmcnt(0)
	ds_write_b64 v6, v[4:5]
.LBB18_28:
	s_or_b64 exec, exec, s[2:3]
	v_or_b32_e32 v9, 0x200, v0
	v_cmp_le_u32_e32 vcc, s15, v9
	s_mov_b64 s[4:5], -1
	v_mov_b64_e32 v[4:5], s[18:19]
	v_mov_b32_e32 v6, v9
	s_and_saveexec_b64 s[2:3], vcc
; %bb.29:
	v_subrev_u32_e32 v6, s15, v9
	v_cmp_gt_u32_e32 vcc, s27, v6
	v_mov_b64_e32 v[4:5], s[8:9]
	s_orn2_b64 s[4:5], vcc, exec
; %bb.30:
	s_or_b64 exec, exec, s[2:3]
.LBB18_31:
	s_and_saveexec_b64 s[2:3], s[4:5]
	s_cbranch_execz .LBB18_33
; %bb.32:
	v_mov_b32_e32 v7, 0
	v_lshl_add_u64 v[4:5], v[6:7], 3, v[4:5]
	global_load_dwordx2 v[4:5], v[4:5], off
	v_lshlrev_b32_e32 v6, 3, v9
	s_waitcnt vmcnt(0)
	ds_write_b64 v6, v[4:5]
.LBB18_33:
	s_or_b64 exec, exec, s[2:3]
	s_and_b64 vcc, exec, s[0:1]
	v_add_u32_e32 v4, s14, v2
	s_waitcnt lgkmcnt(0)
	s_barrier
	s_cbranch_vccnz .LBB18_35
; %bb.34:
	v_lshlrev_b32_e32 v5, 3, v8
	ds_read_b64 v[6:7], v5
	v_mov_b32_e32 v5, 0
	v_lshl_add_u64 v[10:11], v[4:5], 3, s[10:11]
	s_mov_b64 s[0:1], -1
	s_waitcnt lgkmcnt(0)
	global_store_dwordx2 v[10:11], v[6:7], off
	s_cbranch_execz .LBB18_36
	s_branch .LBB18_41
.LBB18_35:
	s_mov_b64 s[0:1], 0
.LBB18_36:
	v_cmp_gt_u32_e32 vcc, s13, v2
	s_and_saveexec_b64 s[2:3], vcc
	s_cbranch_execz .LBB18_38
; %bb.37:
	v_lshlrev_b32_e32 v5, 3, v8
	ds_read_b64 v[6:7], v5
	v_mov_b32_e32 v5, 0
	v_lshl_add_u64 v[8:9], v[4:5], 3, s[10:11]
	s_waitcnt lgkmcnt(0)
	global_store_dwordx2 v[8:9], v[6:7], off
.LBB18_38:
	s_or_b64 exec, exec, s[2:3]
	v_or_b32_e32 v5, 1, v2
	v_cmp_gt_u32_e32 vcc, s13, v5
	s_and_saveexec_b64 s[2:3], vcc
; %bb.39:
	v_mov_b32_e32 v5, 0
	s_or_b64 s[0:1], s[0:1], exec
; %bb.40:
	s_or_b64 exec, exec, s[2:3]
.LBB18_41:
	s_and_saveexec_b64 s[2:3], s[0:1]
	s_cbranch_execz .LBB18_43
; %bb.42:
	v_lshlrev_b32_e32 v3, 3, v3
	ds_read_b64 v[6:7], v3
	v_lshl_add_u64 v[4:5], v[4:5], 3, s[10:11]
	s_waitcnt lgkmcnt(0)
	global_store_dwordx2 v[4:5], v[6:7], off offset:8
.LBB18_43:
	s_or_b64 exec, exec, s[2:3]
	v_lshrrev_b32_e32 v4, 3, v0
	v_and_b32_e32 v4, 60, v4
	v_lshrrev_b32_e32 v3, 4, v0
	v_lshl_add_u32 v4, v2, 1, v4
	s_barrier
	s_barrier
	ds_write_b32 v4, v1
	v_and_b32_e32 v1, 28, v3
	s_mov_b32 s15, 0
	v_add_u32_e32 v4, v1, v2
	v_or_b32_e32 v1, 0x200, v0
	s_lshl_b64 s[0:1], s[14:15], 1
	v_lshrrev_b32_e32 v3, 4, v1
	s_add_u32 s0, s6, s0
	v_and_b32_e32 v3, 60, v3
	s_addc_u32 s1, s7, s1
	v_add_u32_e32 v6, v3, v2
	v_mov_b32_e32 v3, 0
	v_lshl_add_u64 v[2:3], s[0:1], 0, v[2:3]
	s_and_b64 vcc, exec, s[16:17]
	s_waitcnt lgkmcnt(0)
	s_cbranch_vccz .LBB18_45
; %bb.44:
	s_barrier
	ds_read_u16 v7, v4
	ds_read_u16 v5, v6 offset:1024
	s_mov_b64 s[0:1], -1
	s_waitcnt lgkmcnt(1)
	global_store_short v[2:3], v7, off
	s_cbranch_execz .LBB18_46
	s_branch .LBB18_49
.LBB18_45:
	s_mov_b64 s[0:1], 0
                                        ; implicit-def: $vgpr5
.LBB18_46:
	s_barrier
	s_waitcnt lgkmcnt(0)
	ds_read_u16 v5, v6 offset:1024
	s_sub_i32 s2, s12, s14
	v_cmp_gt_u32_e32 vcc, s2, v0
	s_and_saveexec_b64 s[0:1], vcc
	s_cbranch_execz .LBB18_48
; %bb.47:
	ds_read_u16 v0, v4
	s_waitcnt lgkmcnt(0)
	global_store_short v[2:3], v0, off
.LBB18_48:
	s_or_b64 exec, exec, s[0:1]
	v_cmp_gt_u32_e64 s[0:1], s2, v1
.LBB18_49:
	s_and_saveexec_b64 s[2:3], s[0:1]
	s_cbranch_execz .LBB18_51
; %bb.50:
	s_waitcnt lgkmcnt(0)
	global_store_short v[2:3], v5, off offset:1024
.LBB18_51:
	s_endpgm
	.section	.rodata,"a",@progbits
	.p2align	6, 0x0
	.amdhsa_kernel _ZN7rocprim17ROCPRIM_304000_NS6detail35device_block_merge_mergepath_kernelINS1_37wrapped_merge_sort_block_merge_configINS0_14default_configEtN2at4cuda3cub6detail10OpaqueTypeILi8EEEEEPtSC_PSA_SD_jNS1_19radix_merge_compareILb0ELb0EtNS0_19identity_decomposerEEEEEvT0_T1_T2_T3_T4_SL_jT5_PKSL_NS1_7vsmem_tE
		.amdhsa_group_segment_fixed_size 8208
		.amdhsa_private_segment_fixed_size 0
		.amdhsa_kernarg_size 320
		.amdhsa_user_sgpr_count 2
		.amdhsa_user_sgpr_dispatch_ptr 0
		.amdhsa_user_sgpr_queue_ptr 0
		.amdhsa_user_sgpr_kernarg_segment_ptr 1
		.amdhsa_user_sgpr_dispatch_id 0
		.amdhsa_user_sgpr_kernarg_preload_length 0
		.amdhsa_user_sgpr_kernarg_preload_offset 0
		.amdhsa_user_sgpr_private_segment_size 0
		.amdhsa_uses_dynamic_stack 0
		.amdhsa_enable_private_segment 0
		.amdhsa_system_sgpr_workgroup_id_x 1
		.amdhsa_system_sgpr_workgroup_id_y 1
		.amdhsa_system_sgpr_workgroup_id_z 1
		.amdhsa_system_sgpr_workgroup_info 0
		.amdhsa_system_vgpr_workitem_id 0
		.amdhsa_next_free_vgpr 14
		.amdhsa_next_free_sgpr 31
		.amdhsa_accum_offset 16
		.amdhsa_reserve_vcc 1
		.amdhsa_float_round_mode_32 0
		.amdhsa_float_round_mode_16_64 0
		.amdhsa_float_denorm_mode_32 3
		.amdhsa_float_denorm_mode_16_64 3
		.amdhsa_dx10_clamp 1
		.amdhsa_ieee_mode 1
		.amdhsa_fp16_overflow 0
		.amdhsa_tg_split 0
		.amdhsa_exception_fp_ieee_invalid_op 0
		.amdhsa_exception_fp_denorm_src 0
		.amdhsa_exception_fp_ieee_div_zero 0
		.amdhsa_exception_fp_ieee_overflow 0
		.amdhsa_exception_fp_ieee_underflow 0
		.amdhsa_exception_fp_ieee_inexact 0
		.amdhsa_exception_int_div_zero 0
	.end_amdhsa_kernel
	.section	.text._ZN7rocprim17ROCPRIM_304000_NS6detail35device_block_merge_mergepath_kernelINS1_37wrapped_merge_sort_block_merge_configINS0_14default_configEtN2at4cuda3cub6detail10OpaqueTypeILi8EEEEEPtSC_PSA_SD_jNS1_19radix_merge_compareILb0ELb0EtNS0_19identity_decomposerEEEEEvT0_T1_T2_T3_T4_SL_jT5_PKSL_NS1_7vsmem_tE,"axG",@progbits,_ZN7rocprim17ROCPRIM_304000_NS6detail35device_block_merge_mergepath_kernelINS1_37wrapped_merge_sort_block_merge_configINS0_14default_configEtN2at4cuda3cub6detail10OpaqueTypeILi8EEEEEPtSC_PSA_SD_jNS1_19radix_merge_compareILb0ELb0EtNS0_19identity_decomposerEEEEEvT0_T1_T2_T3_T4_SL_jT5_PKSL_NS1_7vsmem_tE,comdat
.Lfunc_end18:
	.size	_ZN7rocprim17ROCPRIM_304000_NS6detail35device_block_merge_mergepath_kernelINS1_37wrapped_merge_sort_block_merge_configINS0_14default_configEtN2at4cuda3cub6detail10OpaqueTypeILi8EEEEEPtSC_PSA_SD_jNS1_19radix_merge_compareILb0ELb0EtNS0_19identity_decomposerEEEEEvT0_T1_T2_T3_T4_SL_jT5_PKSL_NS1_7vsmem_tE, .Lfunc_end18-_ZN7rocprim17ROCPRIM_304000_NS6detail35device_block_merge_mergepath_kernelINS1_37wrapped_merge_sort_block_merge_configINS0_14default_configEtN2at4cuda3cub6detail10OpaqueTypeILi8EEEEEPtSC_PSA_SD_jNS1_19radix_merge_compareILb0ELb0EtNS0_19identity_decomposerEEEEEvT0_T1_T2_T3_T4_SL_jT5_PKSL_NS1_7vsmem_tE
                                        ; -- End function
	.set _ZN7rocprim17ROCPRIM_304000_NS6detail35device_block_merge_mergepath_kernelINS1_37wrapped_merge_sort_block_merge_configINS0_14default_configEtN2at4cuda3cub6detail10OpaqueTypeILi8EEEEEPtSC_PSA_SD_jNS1_19radix_merge_compareILb0ELb0EtNS0_19identity_decomposerEEEEEvT0_T1_T2_T3_T4_SL_jT5_PKSL_NS1_7vsmem_tE.num_vgpr, 14
	.set _ZN7rocprim17ROCPRIM_304000_NS6detail35device_block_merge_mergepath_kernelINS1_37wrapped_merge_sort_block_merge_configINS0_14default_configEtN2at4cuda3cub6detail10OpaqueTypeILi8EEEEEPtSC_PSA_SD_jNS1_19radix_merge_compareILb0ELb0EtNS0_19identity_decomposerEEEEEvT0_T1_T2_T3_T4_SL_jT5_PKSL_NS1_7vsmem_tE.num_agpr, 0
	.set _ZN7rocprim17ROCPRIM_304000_NS6detail35device_block_merge_mergepath_kernelINS1_37wrapped_merge_sort_block_merge_configINS0_14default_configEtN2at4cuda3cub6detail10OpaqueTypeILi8EEEEEPtSC_PSA_SD_jNS1_19radix_merge_compareILb0ELb0EtNS0_19identity_decomposerEEEEEvT0_T1_T2_T3_T4_SL_jT5_PKSL_NS1_7vsmem_tE.numbered_sgpr, 31
	.set _ZN7rocprim17ROCPRIM_304000_NS6detail35device_block_merge_mergepath_kernelINS1_37wrapped_merge_sort_block_merge_configINS0_14default_configEtN2at4cuda3cub6detail10OpaqueTypeILi8EEEEEPtSC_PSA_SD_jNS1_19radix_merge_compareILb0ELb0EtNS0_19identity_decomposerEEEEEvT0_T1_T2_T3_T4_SL_jT5_PKSL_NS1_7vsmem_tE.num_named_barrier, 0
	.set _ZN7rocprim17ROCPRIM_304000_NS6detail35device_block_merge_mergepath_kernelINS1_37wrapped_merge_sort_block_merge_configINS0_14default_configEtN2at4cuda3cub6detail10OpaqueTypeILi8EEEEEPtSC_PSA_SD_jNS1_19radix_merge_compareILb0ELb0EtNS0_19identity_decomposerEEEEEvT0_T1_T2_T3_T4_SL_jT5_PKSL_NS1_7vsmem_tE.private_seg_size, 0
	.set _ZN7rocprim17ROCPRIM_304000_NS6detail35device_block_merge_mergepath_kernelINS1_37wrapped_merge_sort_block_merge_configINS0_14default_configEtN2at4cuda3cub6detail10OpaqueTypeILi8EEEEEPtSC_PSA_SD_jNS1_19radix_merge_compareILb0ELb0EtNS0_19identity_decomposerEEEEEvT0_T1_T2_T3_T4_SL_jT5_PKSL_NS1_7vsmem_tE.uses_vcc, 1
	.set _ZN7rocprim17ROCPRIM_304000_NS6detail35device_block_merge_mergepath_kernelINS1_37wrapped_merge_sort_block_merge_configINS0_14default_configEtN2at4cuda3cub6detail10OpaqueTypeILi8EEEEEPtSC_PSA_SD_jNS1_19radix_merge_compareILb0ELb0EtNS0_19identity_decomposerEEEEEvT0_T1_T2_T3_T4_SL_jT5_PKSL_NS1_7vsmem_tE.uses_flat_scratch, 0
	.set _ZN7rocprim17ROCPRIM_304000_NS6detail35device_block_merge_mergepath_kernelINS1_37wrapped_merge_sort_block_merge_configINS0_14default_configEtN2at4cuda3cub6detail10OpaqueTypeILi8EEEEEPtSC_PSA_SD_jNS1_19radix_merge_compareILb0ELb0EtNS0_19identity_decomposerEEEEEvT0_T1_T2_T3_T4_SL_jT5_PKSL_NS1_7vsmem_tE.has_dyn_sized_stack, 0
	.set _ZN7rocprim17ROCPRIM_304000_NS6detail35device_block_merge_mergepath_kernelINS1_37wrapped_merge_sort_block_merge_configINS0_14default_configEtN2at4cuda3cub6detail10OpaqueTypeILi8EEEEEPtSC_PSA_SD_jNS1_19radix_merge_compareILb0ELb0EtNS0_19identity_decomposerEEEEEvT0_T1_T2_T3_T4_SL_jT5_PKSL_NS1_7vsmem_tE.has_recursion, 0
	.set _ZN7rocprim17ROCPRIM_304000_NS6detail35device_block_merge_mergepath_kernelINS1_37wrapped_merge_sort_block_merge_configINS0_14default_configEtN2at4cuda3cub6detail10OpaqueTypeILi8EEEEEPtSC_PSA_SD_jNS1_19radix_merge_compareILb0ELb0EtNS0_19identity_decomposerEEEEEvT0_T1_T2_T3_T4_SL_jT5_PKSL_NS1_7vsmem_tE.has_indirect_call, 0
	.section	.AMDGPU.csdata,"",@progbits
; Kernel info:
; codeLenInByte = 1868
; TotalNumSgprs: 37
; NumVgprs: 14
; NumAgprs: 0
; TotalNumVgprs: 14
; ScratchSize: 0
; MemoryBound: 0
; FloatMode: 240
; IeeeMode: 1
; LDSByteSize: 8208 bytes/workgroup (compile time only)
; SGPRBlocks: 4
; VGPRBlocks: 1
; NumSGPRsForWavesPerEU: 37
; NumVGPRsForWavesPerEU: 14
; AccumOffset: 16
; Occupancy: 8
; WaveLimiterHint : 1
; COMPUTE_PGM_RSRC2:SCRATCH_EN: 0
; COMPUTE_PGM_RSRC2:USER_SGPR: 2
; COMPUTE_PGM_RSRC2:TRAP_HANDLER: 0
; COMPUTE_PGM_RSRC2:TGID_X_EN: 1
; COMPUTE_PGM_RSRC2:TGID_Y_EN: 1
; COMPUTE_PGM_RSRC2:TGID_Z_EN: 1
; COMPUTE_PGM_RSRC2:TIDIG_COMP_CNT: 0
; COMPUTE_PGM_RSRC3_GFX90A:ACCUM_OFFSET: 3
; COMPUTE_PGM_RSRC3_GFX90A:TG_SPLIT: 0
	.section	.text._ZN7rocprim17ROCPRIM_304000_NS6detail33device_block_merge_oddeven_kernelINS1_37wrapped_merge_sort_block_merge_configINS0_14default_configEtN2at4cuda3cub6detail10OpaqueTypeILi8EEEEEPtSC_PSA_SD_jNS1_19radix_merge_compareILb0ELb0EtNS0_19identity_decomposerEEEEEvT0_T1_T2_T3_T4_SL_T5_,"axG",@progbits,_ZN7rocprim17ROCPRIM_304000_NS6detail33device_block_merge_oddeven_kernelINS1_37wrapped_merge_sort_block_merge_configINS0_14default_configEtN2at4cuda3cub6detail10OpaqueTypeILi8EEEEEPtSC_PSA_SD_jNS1_19radix_merge_compareILb0ELb0EtNS0_19identity_decomposerEEEEEvT0_T1_T2_T3_T4_SL_T5_,comdat
	.protected	_ZN7rocprim17ROCPRIM_304000_NS6detail33device_block_merge_oddeven_kernelINS1_37wrapped_merge_sort_block_merge_configINS0_14default_configEtN2at4cuda3cub6detail10OpaqueTypeILi8EEEEEPtSC_PSA_SD_jNS1_19radix_merge_compareILb0ELb0EtNS0_19identity_decomposerEEEEEvT0_T1_T2_T3_T4_SL_T5_ ; -- Begin function _ZN7rocprim17ROCPRIM_304000_NS6detail33device_block_merge_oddeven_kernelINS1_37wrapped_merge_sort_block_merge_configINS0_14default_configEtN2at4cuda3cub6detail10OpaqueTypeILi8EEEEEPtSC_PSA_SD_jNS1_19radix_merge_compareILb0ELb0EtNS0_19identity_decomposerEEEEEvT0_T1_T2_T3_T4_SL_T5_
	.globl	_ZN7rocprim17ROCPRIM_304000_NS6detail33device_block_merge_oddeven_kernelINS1_37wrapped_merge_sort_block_merge_configINS0_14default_configEtN2at4cuda3cub6detail10OpaqueTypeILi8EEEEEPtSC_PSA_SD_jNS1_19radix_merge_compareILb0ELb0EtNS0_19identity_decomposerEEEEEvT0_T1_T2_T3_T4_SL_T5_
	.p2align	8
	.type	_ZN7rocprim17ROCPRIM_304000_NS6detail33device_block_merge_oddeven_kernelINS1_37wrapped_merge_sort_block_merge_configINS0_14default_configEtN2at4cuda3cub6detail10OpaqueTypeILi8EEEEEPtSC_PSA_SD_jNS1_19radix_merge_compareILb0ELb0EtNS0_19identity_decomposerEEEEEvT0_T1_T2_T3_T4_SL_T5_,@function
_ZN7rocprim17ROCPRIM_304000_NS6detail33device_block_merge_oddeven_kernelINS1_37wrapped_merge_sort_block_merge_configINS0_14default_configEtN2at4cuda3cub6detail10OpaqueTypeILi8EEEEEPtSC_PSA_SD_jNS1_19radix_merge_compareILb0ELb0EtNS0_19identity_decomposerEEEEEvT0_T1_T2_T3_T4_SL_T5_: ; @_ZN7rocprim17ROCPRIM_304000_NS6detail33device_block_merge_oddeven_kernelINS1_37wrapped_merge_sort_block_merge_configINS0_14default_configEtN2at4cuda3cub6detail10OpaqueTypeILi8EEEEEPtSC_PSA_SD_jNS1_19radix_merge_compareILb0ELb0EtNS0_19identity_decomposerEEEEEvT0_T1_T2_T3_T4_SL_T5_
; %bb.0:
	s_load_dwordx2 s[16:17], s[0:1], 0x20
	s_waitcnt lgkmcnt(0)
	s_lshr_b32 s3, s16, 8
	s_cmp_eq_u32 s2, s3
	s_cselect_b64 s[6:7], -1, 0
	s_cmp_lg_u32 s2, s3
	s_cselect_b64 s[8:9], -1, 0
	s_lshl_b32 s18, s2, 8
	s_sub_i32 s3, s16, s18
	v_cmp_gt_u32_e64 s[4:5], s3, v0
	s_or_b64 s[8:9], s[8:9], s[4:5]
	s_and_saveexec_b64 s[10:11], s[8:9]
	s_cbranch_execz .LBB19_24
; %bb.1:
	s_load_dwordx8 s[8:15], s[0:1], 0x0
	s_mov_b32 s19, 0
	s_lshl_b64 s[0:1], s[18:19], 1
	v_lshlrev_b32_e32 v5, 3, v0
	v_lshlrev_b32_e32 v1, 1, v0
	s_waitcnt lgkmcnt(0)
	s_add_u32 s0, s8, s0
	s_addc_u32 s1, s9, s1
	s_lshl_b64 s[20:21], s[18:19], 3
	s_add_u32 s12, s12, s20
	s_addc_u32 s13, s13, s21
	global_load_dwordx2 v[2:3], v5, s[12:13]
	global_load_ushort v4, v1, s[0:1]
	s_lshr_b32 s0, s17, 8
	s_sub_i32 s1, 0, s0
	s_and_b32 s1, s2, s1
	s_and_b32 s0, s1, s0
	s_lshl_b32 s19, s1, 8
	s_sub_i32 s12, 0, s17
	s_cmp_eq_u32 s0, 0
	s_cselect_b64 s[0:1], -1, 0
	s_and_b64 s[2:3], s[0:1], exec
	s_cselect_b32 s12, s17, s12
	s_add_i32 s12, s12, s19
	s_mov_b64 s[2:3], -1
	s_cmp_gt_u32 s16, s12
	v_add_u32_e32 v0, s18, v0
	s_cbranch_scc1 .LBB19_9
; %bb.2:
	s_and_b64 vcc, exec, s[6:7]
	s_cbranch_vccz .LBB19_6
; %bb.3:
	v_cmp_gt_u32_e32 vcc, s16, v0
	s_and_saveexec_b64 s[2:3], vcc
	s_cbranch_execz .LBB19_5
; %bb.4:
	v_mov_b32_e32 v1, 0
	v_lshl_add_u64 v[8:9], v[0:1], 1, s[10:11]
	v_lshl_add_u64 v[6:7], v[0:1], 3, s[14:15]
	s_waitcnt vmcnt(0)
	global_store_short v[8:9], v4, off
	global_store_dwordx2 v[6:7], v[2:3], off
.LBB19_5:
	s_or_b64 exec, exec, s[2:3]
	s_mov_b64 s[2:3], 0
.LBB19_6:
	s_andn2_b64 vcc, exec, s[2:3]
	s_cbranch_vccnz .LBB19_8
; %bb.7:
	v_mov_b32_e32 v1, 0
	v_lshl_add_u64 v[6:7], v[0:1], 1, s[10:11]
	v_lshl_add_u64 v[8:9], v[0:1], 3, s[14:15]
	s_waitcnt vmcnt(0)
	global_store_short v[6:7], v4, off
	global_store_dwordx2 v[8:9], v[2:3], off
.LBB19_8:
	s_mov_b64 s[2:3], 0
.LBB19_9:
	s_andn2_b64 vcc, exec, s[2:3]
	s_cbranch_vccnz .LBB19_24
; %bb.10:
	s_min_u32 s13, s12, s16
	s_add_i32 s2, s13, s17
	s_min_u32 s16, s2, s16
	s_min_u32 s2, s19, s13
	s_add_i32 s19, s19, s13
	v_subrev_u32_e32 v0, s19, v0
	v_add_u32_e32 v0, s2, v0
	s_andn2_b64 vcc, exec, s[6:7]
	s_mov_b64 s[2:3], -1
	s_cbranch_vccnz .LBB19_18
; %bb.11:
	s_and_saveexec_b64 s[2:3], s[4:5]
	s_cbranch_execz .LBB19_17
; %bb.12:
	s_cmp_ge_u32 s12, s16
	v_mov_b32_e32 v1, s13
	s_cbranch_scc1 .LBB19_16
; %bb.13:
	s_mov_b64 s[4:5], 0
	v_mov_b32_e32 v5, s16
	v_mov_b32_e32 v1, s13
.LBB19_14:                              ; =>This Inner Loop Header: Depth=1
	v_add_u32_e32 v6, v1, v5
	v_and_b32_e32 v7, -2, v6
	global_load_ushort v7, v7, s[8:9]
	v_lshrrev_b32_e32 v6, 1, v6
	v_add_u32_e32 v8, 1, v6
	s_waitcnt vmcnt(0)
	v_cmp_gt_u16_e32 vcc, v4, v7
	s_nop 1
	v_cndmask_b32_e64 v9, 0, 1, vcc
	v_cmp_le_u16_e32 vcc, v7, v4
	s_nop 1
	v_cndmask_b32_e64 v7, 0, 1, vcc
	v_cndmask_b32_e64 v7, v7, v9, s[0:1]
	v_and_b32_e32 v7, 1, v7
	v_cmp_eq_u32_e32 vcc, 1, v7
	s_nop 1
	v_cndmask_b32_e32 v5, v6, v5, vcc
	v_cndmask_b32_e32 v1, v1, v8, vcc
	v_cmp_ge_u32_e32 vcc, v1, v5
	s_or_b64 s[4:5], vcc, s[4:5]
	s_andn2_b64 exec, exec, s[4:5]
	s_cbranch_execnz .LBB19_14
; %bb.15:
	s_or_b64 exec, exec, s[4:5]
.LBB19_16:
	v_add_u32_e32 v6, v1, v0
	v_mov_b32_e32 v7, 0
	v_lshl_add_u64 v[8:9], v[6:7], 1, s[10:11]
	v_lshl_add_u64 v[6:7], v[6:7], 3, s[14:15]
	s_waitcnt vmcnt(0)
	global_store_short v[8:9], v4, off
	global_store_dwordx2 v[6:7], v[2:3], off
.LBB19_17:
	s_or_b64 exec, exec, s[2:3]
	s_mov_b64 s[2:3], 0
.LBB19_18:
	s_andn2_b64 vcc, exec, s[2:3]
	s_cbranch_vccnz .LBB19_24
; %bb.19:
	s_cmp_ge_u32 s12, s16
	v_mov_b32_e32 v1, s13
	s_cbranch_scc1 .LBB19_23
; %bb.20:
	s_mov_b64 s[2:3], 0
	v_mov_b32_e32 v5, s16
	v_mov_b32_e32 v1, s13
.LBB19_21:                              ; =>This Inner Loop Header: Depth=1
	v_add_u32_e32 v6, v1, v5
	v_and_b32_e32 v7, -2, v6
	global_load_ushort v7, v7, s[8:9]
	v_lshrrev_b32_e32 v6, 1, v6
	v_add_u32_e32 v8, 1, v6
	s_waitcnt vmcnt(0)
	v_cmp_gt_u16_e32 vcc, v4, v7
	s_nop 1
	v_cndmask_b32_e64 v9, 0, 1, vcc
	v_cmp_le_u16_e32 vcc, v7, v4
	s_nop 1
	v_cndmask_b32_e64 v7, 0, 1, vcc
	v_cndmask_b32_e64 v7, v7, v9, s[0:1]
	v_and_b32_e32 v7, 1, v7
	v_cmp_eq_u32_e32 vcc, 1, v7
	s_nop 1
	v_cndmask_b32_e32 v5, v6, v5, vcc
	v_cndmask_b32_e32 v1, v1, v8, vcc
	v_cmp_ge_u32_e32 vcc, v1, v5
	s_or_b64 s[2:3], vcc, s[2:3]
	s_andn2_b64 exec, exec, s[2:3]
	s_cbranch_execnz .LBB19_21
; %bb.22:
	s_or_b64 exec, exec, s[2:3]
.LBB19_23:
	v_add_u32_e32 v0, v1, v0
	v_mov_b32_e32 v1, 0
	v_lshl_add_u64 v[6:7], v[0:1], 1, s[10:11]
	v_lshl_add_u64 v[0:1], v[0:1], 3, s[14:15]
	s_waitcnt vmcnt(0)
	global_store_short v[6:7], v4, off
	global_store_dwordx2 v[0:1], v[2:3], off
.LBB19_24:
	s_endpgm
	.section	.rodata,"a",@progbits
	.p2align	6, 0x0
	.amdhsa_kernel _ZN7rocprim17ROCPRIM_304000_NS6detail33device_block_merge_oddeven_kernelINS1_37wrapped_merge_sort_block_merge_configINS0_14default_configEtN2at4cuda3cub6detail10OpaqueTypeILi8EEEEEPtSC_PSA_SD_jNS1_19radix_merge_compareILb0ELb0EtNS0_19identity_decomposerEEEEEvT0_T1_T2_T3_T4_SL_T5_
		.amdhsa_group_segment_fixed_size 0
		.amdhsa_private_segment_fixed_size 0
		.amdhsa_kernarg_size 44
		.amdhsa_user_sgpr_count 2
		.amdhsa_user_sgpr_dispatch_ptr 0
		.amdhsa_user_sgpr_queue_ptr 0
		.amdhsa_user_sgpr_kernarg_segment_ptr 1
		.amdhsa_user_sgpr_dispatch_id 0
		.amdhsa_user_sgpr_kernarg_preload_length 0
		.amdhsa_user_sgpr_kernarg_preload_offset 0
		.amdhsa_user_sgpr_private_segment_size 0
		.amdhsa_uses_dynamic_stack 0
		.amdhsa_enable_private_segment 0
		.amdhsa_system_sgpr_workgroup_id_x 1
		.amdhsa_system_sgpr_workgroup_id_y 0
		.amdhsa_system_sgpr_workgroup_id_z 0
		.amdhsa_system_sgpr_workgroup_info 0
		.amdhsa_system_vgpr_workitem_id 0
		.amdhsa_next_free_vgpr 10
		.amdhsa_next_free_sgpr 22
		.amdhsa_accum_offset 12
		.amdhsa_reserve_vcc 1
		.amdhsa_float_round_mode_32 0
		.amdhsa_float_round_mode_16_64 0
		.amdhsa_float_denorm_mode_32 3
		.amdhsa_float_denorm_mode_16_64 3
		.amdhsa_dx10_clamp 1
		.amdhsa_ieee_mode 1
		.amdhsa_fp16_overflow 0
		.amdhsa_tg_split 0
		.amdhsa_exception_fp_ieee_invalid_op 0
		.amdhsa_exception_fp_denorm_src 0
		.amdhsa_exception_fp_ieee_div_zero 0
		.amdhsa_exception_fp_ieee_overflow 0
		.amdhsa_exception_fp_ieee_underflow 0
		.amdhsa_exception_fp_ieee_inexact 0
		.amdhsa_exception_int_div_zero 0
	.end_amdhsa_kernel
	.section	.text._ZN7rocprim17ROCPRIM_304000_NS6detail33device_block_merge_oddeven_kernelINS1_37wrapped_merge_sort_block_merge_configINS0_14default_configEtN2at4cuda3cub6detail10OpaqueTypeILi8EEEEEPtSC_PSA_SD_jNS1_19radix_merge_compareILb0ELb0EtNS0_19identity_decomposerEEEEEvT0_T1_T2_T3_T4_SL_T5_,"axG",@progbits,_ZN7rocprim17ROCPRIM_304000_NS6detail33device_block_merge_oddeven_kernelINS1_37wrapped_merge_sort_block_merge_configINS0_14default_configEtN2at4cuda3cub6detail10OpaqueTypeILi8EEEEEPtSC_PSA_SD_jNS1_19radix_merge_compareILb0ELb0EtNS0_19identity_decomposerEEEEEvT0_T1_T2_T3_T4_SL_T5_,comdat
.Lfunc_end19:
	.size	_ZN7rocprim17ROCPRIM_304000_NS6detail33device_block_merge_oddeven_kernelINS1_37wrapped_merge_sort_block_merge_configINS0_14default_configEtN2at4cuda3cub6detail10OpaqueTypeILi8EEEEEPtSC_PSA_SD_jNS1_19radix_merge_compareILb0ELb0EtNS0_19identity_decomposerEEEEEvT0_T1_T2_T3_T4_SL_T5_, .Lfunc_end19-_ZN7rocprim17ROCPRIM_304000_NS6detail33device_block_merge_oddeven_kernelINS1_37wrapped_merge_sort_block_merge_configINS0_14default_configEtN2at4cuda3cub6detail10OpaqueTypeILi8EEEEEPtSC_PSA_SD_jNS1_19radix_merge_compareILb0ELb0EtNS0_19identity_decomposerEEEEEvT0_T1_T2_T3_T4_SL_T5_
                                        ; -- End function
	.set _ZN7rocprim17ROCPRIM_304000_NS6detail33device_block_merge_oddeven_kernelINS1_37wrapped_merge_sort_block_merge_configINS0_14default_configEtN2at4cuda3cub6detail10OpaqueTypeILi8EEEEEPtSC_PSA_SD_jNS1_19radix_merge_compareILb0ELb0EtNS0_19identity_decomposerEEEEEvT0_T1_T2_T3_T4_SL_T5_.num_vgpr, 10
	.set _ZN7rocprim17ROCPRIM_304000_NS6detail33device_block_merge_oddeven_kernelINS1_37wrapped_merge_sort_block_merge_configINS0_14default_configEtN2at4cuda3cub6detail10OpaqueTypeILi8EEEEEPtSC_PSA_SD_jNS1_19radix_merge_compareILb0ELb0EtNS0_19identity_decomposerEEEEEvT0_T1_T2_T3_T4_SL_T5_.num_agpr, 0
	.set _ZN7rocprim17ROCPRIM_304000_NS6detail33device_block_merge_oddeven_kernelINS1_37wrapped_merge_sort_block_merge_configINS0_14default_configEtN2at4cuda3cub6detail10OpaqueTypeILi8EEEEEPtSC_PSA_SD_jNS1_19radix_merge_compareILb0ELb0EtNS0_19identity_decomposerEEEEEvT0_T1_T2_T3_T4_SL_T5_.numbered_sgpr, 22
	.set _ZN7rocprim17ROCPRIM_304000_NS6detail33device_block_merge_oddeven_kernelINS1_37wrapped_merge_sort_block_merge_configINS0_14default_configEtN2at4cuda3cub6detail10OpaqueTypeILi8EEEEEPtSC_PSA_SD_jNS1_19radix_merge_compareILb0ELb0EtNS0_19identity_decomposerEEEEEvT0_T1_T2_T3_T4_SL_T5_.num_named_barrier, 0
	.set _ZN7rocprim17ROCPRIM_304000_NS6detail33device_block_merge_oddeven_kernelINS1_37wrapped_merge_sort_block_merge_configINS0_14default_configEtN2at4cuda3cub6detail10OpaqueTypeILi8EEEEEPtSC_PSA_SD_jNS1_19radix_merge_compareILb0ELb0EtNS0_19identity_decomposerEEEEEvT0_T1_T2_T3_T4_SL_T5_.private_seg_size, 0
	.set _ZN7rocprim17ROCPRIM_304000_NS6detail33device_block_merge_oddeven_kernelINS1_37wrapped_merge_sort_block_merge_configINS0_14default_configEtN2at4cuda3cub6detail10OpaqueTypeILi8EEEEEPtSC_PSA_SD_jNS1_19radix_merge_compareILb0ELb0EtNS0_19identity_decomposerEEEEEvT0_T1_T2_T3_T4_SL_T5_.uses_vcc, 1
	.set _ZN7rocprim17ROCPRIM_304000_NS6detail33device_block_merge_oddeven_kernelINS1_37wrapped_merge_sort_block_merge_configINS0_14default_configEtN2at4cuda3cub6detail10OpaqueTypeILi8EEEEEPtSC_PSA_SD_jNS1_19radix_merge_compareILb0ELb0EtNS0_19identity_decomposerEEEEEvT0_T1_T2_T3_T4_SL_T5_.uses_flat_scratch, 0
	.set _ZN7rocprim17ROCPRIM_304000_NS6detail33device_block_merge_oddeven_kernelINS1_37wrapped_merge_sort_block_merge_configINS0_14default_configEtN2at4cuda3cub6detail10OpaqueTypeILi8EEEEEPtSC_PSA_SD_jNS1_19radix_merge_compareILb0ELb0EtNS0_19identity_decomposerEEEEEvT0_T1_T2_T3_T4_SL_T5_.has_dyn_sized_stack, 0
	.set _ZN7rocprim17ROCPRIM_304000_NS6detail33device_block_merge_oddeven_kernelINS1_37wrapped_merge_sort_block_merge_configINS0_14default_configEtN2at4cuda3cub6detail10OpaqueTypeILi8EEEEEPtSC_PSA_SD_jNS1_19radix_merge_compareILb0ELb0EtNS0_19identity_decomposerEEEEEvT0_T1_T2_T3_T4_SL_T5_.has_recursion, 0
	.set _ZN7rocprim17ROCPRIM_304000_NS6detail33device_block_merge_oddeven_kernelINS1_37wrapped_merge_sort_block_merge_configINS0_14default_configEtN2at4cuda3cub6detail10OpaqueTypeILi8EEEEEPtSC_PSA_SD_jNS1_19radix_merge_compareILb0ELb0EtNS0_19identity_decomposerEEEEEvT0_T1_T2_T3_T4_SL_T5_.has_indirect_call, 0
	.section	.AMDGPU.csdata,"",@progbits
; Kernel info:
; codeLenInByte = 732
; TotalNumSgprs: 28
; NumVgprs: 10
; NumAgprs: 0
; TotalNumVgprs: 10
; ScratchSize: 0
; MemoryBound: 0
; FloatMode: 240
; IeeeMode: 1
; LDSByteSize: 0 bytes/workgroup (compile time only)
; SGPRBlocks: 3
; VGPRBlocks: 1
; NumSGPRsForWavesPerEU: 28
; NumVGPRsForWavesPerEU: 10
; AccumOffset: 12
; Occupancy: 8
; WaveLimiterHint : 0
; COMPUTE_PGM_RSRC2:SCRATCH_EN: 0
; COMPUTE_PGM_RSRC2:USER_SGPR: 2
; COMPUTE_PGM_RSRC2:TRAP_HANDLER: 0
; COMPUTE_PGM_RSRC2:TGID_X_EN: 1
; COMPUTE_PGM_RSRC2:TGID_Y_EN: 0
; COMPUTE_PGM_RSRC2:TGID_Z_EN: 0
; COMPUTE_PGM_RSRC2:TIDIG_COMP_CNT: 0
; COMPUTE_PGM_RSRC3_GFX90A:ACCUM_OFFSET: 2
; COMPUTE_PGM_RSRC3_GFX90A:TG_SPLIT: 0
	.section	.text._ZN7rocprim17ROCPRIM_304000_NS6detail45device_block_merge_mergepath_partition_kernelINS1_37wrapped_merge_sort_block_merge_configINS0_14default_configEtN2at4cuda3cub6detail10OpaqueTypeILi8EEEEEPtjNS1_19radix_merge_compareILb0ELb1EtNS0_19identity_decomposerEEEEEvT0_T1_jPSH_T2_SH_,"axG",@progbits,_ZN7rocprim17ROCPRIM_304000_NS6detail45device_block_merge_mergepath_partition_kernelINS1_37wrapped_merge_sort_block_merge_configINS0_14default_configEtN2at4cuda3cub6detail10OpaqueTypeILi8EEEEEPtjNS1_19radix_merge_compareILb0ELb1EtNS0_19identity_decomposerEEEEEvT0_T1_jPSH_T2_SH_,comdat
	.protected	_ZN7rocprim17ROCPRIM_304000_NS6detail45device_block_merge_mergepath_partition_kernelINS1_37wrapped_merge_sort_block_merge_configINS0_14default_configEtN2at4cuda3cub6detail10OpaqueTypeILi8EEEEEPtjNS1_19radix_merge_compareILb0ELb1EtNS0_19identity_decomposerEEEEEvT0_T1_jPSH_T2_SH_ ; -- Begin function _ZN7rocprim17ROCPRIM_304000_NS6detail45device_block_merge_mergepath_partition_kernelINS1_37wrapped_merge_sort_block_merge_configINS0_14default_configEtN2at4cuda3cub6detail10OpaqueTypeILi8EEEEEPtjNS1_19radix_merge_compareILb0ELb1EtNS0_19identity_decomposerEEEEEvT0_T1_jPSH_T2_SH_
	.globl	_ZN7rocprim17ROCPRIM_304000_NS6detail45device_block_merge_mergepath_partition_kernelINS1_37wrapped_merge_sort_block_merge_configINS0_14default_configEtN2at4cuda3cub6detail10OpaqueTypeILi8EEEEEPtjNS1_19radix_merge_compareILb0ELb1EtNS0_19identity_decomposerEEEEEvT0_T1_jPSH_T2_SH_
	.p2align	8
	.type	_ZN7rocprim17ROCPRIM_304000_NS6detail45device_block_merge_mergepath_partition_kernelINS1_37wrapped_merge_sort_block_merge_configINS0_14default_configEtN2at4cuda3cub6detail10OpaqueTypeILi8EEEEEPtjNS1_19radix_merge_compareILb0ELb1EtNS0_19identity_decomposerEEEEEvT0_T1_jPSH_T2_SH_,@function
_ZN7rocprim17ROCPRIM_304000_NS6detail45device_block_merge_mergepath_partition_kernelINS1_37wrapped_merge_sort_block_merge_configINS0_14default_configEtN2at4cuda3cub6detail10OpaqueTypeILi8EEEEEPtjNS1_19radix_merge_compareILb0ELb1EtNS0_19identity_decomposerEEEEEvT0_T1_jPSH_T2_SH_: ; @_ZN7rocprim17ROCPRIM_304000_NS6detail45device_block_merge_mergepath_partition_kernelINS1_37wrapped_merge_sort_block_merge_configINS0_14default_configEtN2at4cuda3cub6detail10OpaqueTypeILi8EEEEEPtjNS1_19radix_merge_compareILb0ELb1EtNS0_19identity_decomposerEEEEEvT0_T1_jPSH_T2_SH_
; %bb.0:
	s_load_dwordx2 s[4:5], s[0:1], 0x8
	v_lshl_or_b32 v0, s2, 7, v0
	s_waitcnt lgkmcnt(0)
	v_cmp_gt_u32_e32 vcc, s5, v0
	s_and_saveexec_b64 s[2:3], vcc
	s_cbranch_execz .LBB20_6
; %bb.1:
	s_load_dwordx2 s[2:3], s[0:1], 0x18
	s_waitcnt lgkmcnt(0)
	s_lshr_b32 s5, s3, 9
	s_and_b32 s5, s5, 0x7ffffe
	s_add_i32 s6, s5, -1
	s_sub_i32 s5, 0, s5
	v_and_b32_e32 v1, s5, v0
	v_and_b32_e32 v2, s6, v0
	v_lshlrev_b32_e32 v1, 10, v1
	v_lshlrev_b32_e32 v3, 10, v2
	v_min_u32_e32 v2, s4, v1
	v_add_u32_e32 v1, s3, v1
	v_min_u32_e32 v4, s4, v1
	v_add_u32_e32 v1, s3, v4
	v_min_u32_e32 v1, s4, v1
	v_sub_u32_e32 v5, v1, v2
	v_min_u32_e32 v10, v5, v3
	v_sub_u32_e32 v3, v4, v2
	v_sub_u32_e32 v1, v1, v4
	v_sub_u32_e64 v1, v10, v1 clamp
	v_min_u32_e32 v11, v10, v3
	v_cmp_lt_u32_e32 vcc, v1, v11
	s_and_saveexec_b64 s[4:5], vcc
	s_cbranch_execz .LBB20_5
; %bb.2:
	s_load_dwordx2 s[6:7], s[0:1], 0x0
	v_mov_b32_e32 v5, 0
	v_mov_b32_e32 v3, v5
	s_waitcnt lgkmcnt(0)
	v_lshl_add_u64 v[6:7], v[2:3], 1, s[6:7]
	v_lshl_add_u64 v[8:9], v[4:5], 1, s[6:7]
	s_mov_b64 s[6:7], 0
.LBB20_3:                               ; =>This Inner Loop Header: Depth=1
	v_add_u32_e32 v3, v11, v1
	v_lshrrev_b32_e32 v16, 1, v3
	v_and_b32_e32 v4, -2, v3
	v_mov_b32_e32 v13, v5
	v_xad_u32 v12, v16, -1, v10
	v_lshl_add_u64 v[14:15], v[6:7], 0, v[4:5]
	v_lshl_add_u64 v[12:13], v[12:13], 1, v[8:9]
	global_load_ushort v3, v[14:15], off
	global_load_ushort v4, v[12:13], off
	v_add_u32_e32 v12, 1, v16
	s_waitcnt vmcnt(1)
	v_and_b32_e32 v3, s2, v3
	s_waitcnt vmcnt(0)
	v_and_b32_e32 v4, s2, v4
	v_cmp_gt_u16_e32 vcc, v3, v4
	s_nop 1
	v_cndmask_b32_e32 v11, v11, v16, vcc
	v_cndmask_b32_e32 v1, v12, v1, vcc
	v_cmp_ge_u32_e32 vcc, v1, v11
	s_or_b64 s[6:7], vcc, s[6:7]
	s_andn2_b64 exec, exec, s[6:7]
	s_cbranch_execnz .LBB20_3
; %bb.4:
	s_or_b64 exec, exec, s[6:7]
.LBB20_5:
	s_or_b64 exec, exec, s[4:5]
	s_load_dwordx2 s[0:1], s[0:1], 0x10
	v_add_u32_e32 v2, v1, v2
	v_mov_b32_e32 v1, 0
	s_waitcnt lgkmcnt(0)
	v_lshl_add_u64 v[0:1], v[0:1], 2, s[0:1]
	global_store_dword v[0:1], v2, off
.LBB20_6:
	s_endpgm
	.section	.rodata,"a",@progbits
	.p2align	6, 0x0
	.amdhsa_kernel _ZN7rocprim17ROCPRIM_304000_NS6detail45device_block_merge_mergepath_partition_kernelINS1_37wrapped_merge_sort_block_merge_configINS0_14default_configEtN2at4cuda3cub6detail10OpaqueTypeILi8EEEEEPtjNS1_19radix_merge_compareILb0ELb1EtNS0_19identity_decomposerEEEEEvT0_T1_jPSH_T2_SH_
		.amdhsa_group_segment_fixed_size 0
		.amdhsa_private_segment_fixed_size 0
		.amdhsa_kernarg_size 32
		.amdhsa_user_sgpr_count 2
		.amdhsa_user_sgpr_dispatch_ptr 0
		.amdhsa_user_sgpr_queue_ptr 0
		.amdhsa_user_sgpr_kernarg_segment_ptr 1
		.amdhsa_user_sgpr_dispatch_id 0
		.amdhsa_user_sgpr_kernarg_preload_length 0
		.amdhsa_user_sgpr_kernarg_preload_offset 0
		.amdhsa_user_sgpr_private_segment_size 0
		.amdhsa_uses_dynamic_stack 0
		.amdhsa_enable_private_segment 0
		.amdhsa_system_sgpr_workgroup_id_x 1
		.amdhsa_system_sgpr_workgroup_id_y 0
		.amdhsa_system_sgpr_workgroup_id_z 0
		.amdhsa_system_sgpr_workgroup_info 0
		.amdhsa_system_vgpr_workitem_id 0
		.amdhsa_next_free_vgpr 17
		.amdhsa_next_free_sgpr 8
		.amdhsa_accum_offset 20
		.amdhsa_reserve_vcc 1
		.amdhsa_float_round_mode_32 0
		.amdhsa_float_round_mode_16_64 0
		.amdhsa_float_denorm_mode_32 3
		.amdhsa_float_denorm_mode_16_64 3
		.amdhsa_dx10_clamp 1
		.amdhsa_ieee_mode 1
		.amdhsa_fp16_overflow 0
		.amdhsa_tg_split 0
		.amdhsa_exception_fp_ieee_invalid_op 0
		.amdhsa_exception_fp_denorm_src 0
		.amdhsa_exception_fp_ieee_div_zero 0
		.amdhsa_exception_fp_ieee_overflow 0
		.amdhsa_exception_fp_ieee_underflow 0
		.amdhsa_exception_fp_ieee_inexact 0
		.amdhsa_exception_int_div_zero 0
	.end_amdhsa_kernel
	.section	.text._ZN7rocprim17ROCPRIM_304000_NS6detail45device_block_merge_mergepath_partition_kernelINS1_37wrapped_merge_sort_block_merge_configINS0_14default_configEtN2at4cuda3cub6detail10OpaqueTypeILi8EEEEEPtjNS1_19radix_merge_compareILb0ELb1EtNS0_19identity_decomposerEEEEEvT0_T1_jPSH_T2_SH_,"axG",@progbits,_ZN7rocprim17ROCPRIM_304000_NS6detail45device_block_merge_mergepath_partition_kernelINS1_37wrapped_merge_sort_block_merge_configINS0_14default_configEtN2at4cuda3cub6detail10OpaqueTypeILi8EEEEEPtjNS1_19radix_merge_compareILb0ELb1EtNS0_19identity_decomposerEEEEEvT0_T1_jPSH_T2_SH_,comdat
.Lfunc_end20:
	.size	_ZN7rocprim17ROCPRIM_304000_NS6detail45device_block_merge_mergepath_partition_kernelINS1_37wrapped_merge_sort_block_merge_configINS0_14default_configEtN2at4cuda3cub6detail10OpaqueTypeILi8EEEEEPtjNS1_19radix_merge_compareILb0ELb1EtNS0_19identity_decomposerEEEEEvT0_T1_jPSH_T2_SH_, .Lfunc_end20-_ZN7rocprim17ROCPRIM_304000_NS6detail45device_block_merge_mergepath_partition_kernelINS1_37wrapped_merge_sort_block_merge_configINS0_14default_configEtN2at4cuda3cub6detail10OpaqueTypeILi8EEEEEPtjNS1_19radix_merge_compareILb0ELb1EtNS0_19identity_decomposerEEEEEvT0_T1_jPSH_T2_SH_
                                        ; -- End function
	.set _ZN7rocprim17ROCPRIM_304000_NS6detail45device_block_merge_mergepath_partition_kernelINS1_37wrapped_merge_sort_block_merge_configINS0_14default_configEtN2at4cuda3cub6detail10OpaqueTypeILi8EEEEEPtjNS1_19radix_merge_compareILb0ELb1EtNS0_19identity_decomposerEEEEEvT0_T1_jPSH_T2_SH_.num_vgpr, 17
	.set _ZN7rocprim17ROCPRIM_304000_NS6detail45device_block_merge_mergepath_partition_kernelINS1_37wrapped_merge_sort_block_merge_configINS0_14default_configEtN2at4cuda3cub6detail10OpaqueTypeILi8EEEEEPtjNS1_19radix_merge_compareILb0ELb1EtNS0_19identity_decomposerEEEEEvT0_T1_jPSH_T2_SH_.num_agpr, 0
	.set _ZN7rocprim17ROCPRIM_304000_NS6detail45device_block_merge_mergepath_partition_kernelINS1_37wrapped_merge_sort_block_merge_configINS0_14default_configEtN2at4cuda3cub6detail10OpaqueTypeILi8EEEEEPtjNS1_19radix_merge_compareILb0ELb1EtNS0_19identity_decomposerEEEEEvT0_T1_jPSH_T2_SH_.numbered_sgpr, 8
	.set _ZN7rocprim17ROCPRIM_304000_NS6detail45device_block_merge_mergepath_partition_kernelINS1_37wrapped_merge_sort_block_merge_configINS0_14default_configEtN2at4cuda3cub6detail10OpaqueTypeILi8EEEEEPtjNS1_19radix_merge_compareILb0ELb1EtNS0_19identity_decomposerEEEEEvT0_T1_jPSH_T2_SH_.num_named_barrier, 0
	.set _ZN7rocprim17ROCPRIM_304000_NS6detail45device_block_merge_mergepath_partition_kernelINS1_37wrapped_merge_sort_block_merge_configINS0_14default_configEtN2at4cuda3cub6detail10OpaqueTypeILi8EEEEEPtjNS1_19radix_merge_compareILb0ELb1EtNS0_19identity_decomposerEEEEEvT0_T1_jPSH_T2_SH_.private_seg_size, 0
	.set _ZN7rocprim17ROCPRIM_304000_NS6detail45device_block_merge_mergepath_partition_kernelINS1_37wrapped_merge_sort_block_merge_configINS0_14default_configEtN2at4cuda3cub6detail10OpaqueTypeILi8EEEEEPtjNS1_19radix_merge_compareILb0ELb1EtNS0_19identity_decomposerEEEEEvT0_T1_jPSH_T2_SH_.uses_vcc, 1
	.set _ZN7rocprim17ROCPRIM_304000_NS6detail45device_block_merge_mergepath_partition_kernelINS1_37wrapped_merge_sort_block_merge_configINS0_14default_configEtN2at4cuda3cub6detail10OpaqueTypeILi8EEEEEPtjNS1_19radix_merge_compareILb0ELb1EtNS0_19identity_decomposerEEEEEvT0_T1_jPSH_T2_SH_.uses_flat_scratch, 0
	.set _ZN7rocprim17ROCPRIM_304000_NS6detail45device_block_merge_mergepath_partition_kernelINS1_37wrapped_merge_sort_block_merge_configINS0_14default_configEtN2at4cuda3cub6detail10OpaqueTypeILi8EEEEEPtjNS1_19radix_merge_compareILb0ELb1EtNS0_19identity_decomposerEEEEEvT0_T1_jPSH_T2_SH_.has_dyn_sized_stack, 0
	.set _ZN7rocprim17ROCPRIM_304000_NS6detail45device_block_merge_mergepath_partition_kernelINS1_37wrapped_merge_sort_block_merge_configINS0_14default_configEtN2at4cuda3cub6detail10OpaqueTypeILi8EEEEEPtjNS1_19radix_merge_compareILb0ELb1EtNS0_19identity_decomposerEEEEEvT0_T1_jPSH_T2_SH_.has_recursion, 0
	.set _ZN7rocprim17ROCPRIM_304000_NS6detail45device_block_merge_mergepath_partition_kernelINS1_37wrapped_merge_sort_block_merge_configINS0_14default_configEtN2at4cuda3cub6detail10OpaqueTypeILi8EEEEEPtjNS1_19radix_merge_compareILb0ELb1EtNS0_19identity_decomposerEEEEEvT0_T1_jPSH_T2_SH_.has_indirect_call, 0
	.section	.AMDGPU.csdata,"",@progbits
; Kernel info:
; codeLenInByte = 336
; TotalNumSgprs: 14
; NumVgprs: 17
; NumAgprs: 0
; TotalNumVgprs: 17
; ScratchSize: 0
; MemoryBound: 0
; FloatMode: 240
; IeeeMode: 1
; LDSByteSize: 0 bytes/workgroup (compile time only)
; SGPRBlocks: 1
; VGPRBlocks: 2
; NumSGPRsForWavesPerEU: 14
; NumVGPRsForWavesPerEU: 17
; AccumOffset: 20
; Occupancy: 8
; WaveLimiterHint : 0
; COMPUTE_PGM_RSRC2:SCRATCH_EN: 0
; COMPUTE_PGM_RSRC2:USER_SGPR: 2
; COMPUTE_PGM_RSRC2:TRAP_HANDLER: 0
; COMPUTE_PGM_RSRC2:TGID_X_EN: 1
; COMPUTE_PGM_RSRC2:TGID_Y_EN: 0
; COMPUTE_PGM_RSRC2:TGID_Z_EN: 0
; COMPUTE_PGM_RSRC2:TIDIG_COMP_CNT: 0
; COMPUTE_PGM_RSRC3_GFX90A:ACCUM_OFFSET: 4
; COMPUTE_PGM_RSRC3_GFX90A:TG_SPLIT: 0
	.section	.text._ZN7rocprim17ROCPRIM_304000_NS6detail35device_block_merge_mergepath_kernelINS1_37wrapped_merge_sort_block_merge_configINS0_14default_configEtN2at4cuda3cub6detail10OpaqueTypeILi8EEEEEPtSC_PSA_SD_jNS1_19radix_merge_compareILb0ELb1EtNS0_19identity_decomposerEEEEEvT0_T1_T2_T3_T4_SL_jT5_PKSL_NS1_7vsmem_tE,"axG",@progbits,_ZN7rocprim17ROCPRIM_304000_NS6detail35device_block_merge_mergepath_kernelINS1_37wrapped_merge_sort_block_merge_configINS0_14default_configEtN2at4cuda3cub6detail10OpaqueTypeILi8EEEEEPtSC_PSA_SD_jNS1_19radix_merge_compareILb0ELb1EtNS0_19identity_decomposerEEEEEvT0_T1_T2_T3_T4_SL_jT5_PKSL_NS1_7vsmem_tE,comdat
	.protected	_ZN7rocprim17ROCPRIM_304000_NS6detail35device_block_merge_mergepath_kernelINS1_37wrapped_merge_sort_block_merge_configINS0_14default_configEtN2at4cuda3cub6detail10OpaqueTypeILi8EEEEEPtSC_PSA_SD_jNS1_19radix_merge_compareILb0ELb1EtNS0_19identity_decomposerEEEEEvT0_T1_T2_T3_T4_SL_jT5_PKSL_NS1_7vsmem_tE ; -- Begin function _ZN7rocprim17ROCPRIM_304000_NS6detail35device_block_merge_mergepath_kernelINS1_37wrapped_merge_sort_block_merge_configINS0_14default_configEtN2at4cuda3cub6detail10OpaqueTypeILi8EEEEEPtSC_PSA_SD_jNS1_19radix_merge_compareILb0ELb1EtNS0_19identity_decomposerEEEEEvT0_T1_T2_T3_T4_SL_jT5_PKSL_NS1_7vsmem_tE
	.globl	_ZN7rocprim17ROCPRIM_304000_NS6detail35device_block_merge_mergepath_kernelINS1_37wrapped_merge_sort_block_merge_configINS0_14default_configEtN2at4cuda3cub6detail10OpaqueTypeILi8EEEEEPtSC_PSA_SD_jNS1_19radix_merge_compareILb0ELb1EtNS0_19identity_decomposerEEEEEvT0_T1_T2_T3_T4_SL_jT5_PKSL_NS1_7vsmem_tE
	.p2align	8
	.type	_ZN7rocprim17ROCPRIM_304000_NS6detail35device_block_merge_mergepath_kernelINS1_37wrapped_merge_sort_block_merge_configINS0_14default_configEtN2at4cuda3cub6detail10OpaqueTypeILi8EEEEEPtSC_PSA_SD_jNS1_19radix_merge_compareILb0ELb1EtNS0_19identity_decomposerEEEEEvT0_T1_T2_T3_T4_SL_jT5_PKSL_NS1_7vsmem_tE,@function
_ZN7rocprim17ROCPRIM_304000_NS6detail35device_block_merge_mergepath_kernelINS1_37wrapped_merge_sort_block_merge_configINS0_14default_configEtN2at4cuda3cub6detail10OpaqueTypeILi8EEEEEPtSC_PSA_SD_jNS1_19radix_merge_compareILb0ELb1EtNS0_19identity_decomposerEEEEEvT0_T1_T2_T3_T4_SL_jT5_PKSL_NS1_7vsmem_tE: ; @_ZN7rocprim17ROCPRIM_304000_NS6detail35device_block_merge_mergepath_kernelINS1_37wrapped_merge_sort_block_merge_configINS0_14default_configEtN2at4cuda3cub6detail10OpaqueTypeILi8EEEEEPtSC_PSA_SD_jNS1_19radix_merge_compareILb0ELb1EtNS0_19identity_decomposerEEEEEvT0_T1_T2_T3_T4_SL_jT5_PKSL_NS1_7vsmem_tE
; %bb.0:
	s_load_dwordx2 s[26:27], s[0:1], 0x40
	s_load_dwordx4 s[12:15], s[0:1], 0x20
	s_add_u32 s24, s0, 64
	s_addc_u32 s25, s1, 0
	s_waitcnt lgkmcnt(0)
	s_mul_i32 s4, s27, s4
	s_add_i32 s3, s4, s3
	s_mul_i32 s3, s3, s26
	s_add_i32 s22, s3, s2
	s_cmp_ge_u32 s22, s14
	s_cbranch_scc1 .LBB21_51
; %bb.1:
	s_load_dwordx8 s[4:11], s[0:1], 0x0
	s_load_dwordx2 s[18:19], s[0:1], 0x30
	s_lshr_b32 s29, s12, 10
	s_cmp_lg_u32 s22, s29
	s_mov_b32 s23, 0
	s_cselect_b64 s[16:17], -1, 0
	s_lshl_b64 s[0:1], s[22:23], 2
	s_waitcnt lgkmcnt(0)
	s_add_u32 s0, s18, s0
	s_addc_u32 s1, s19, s1
	s_load_dwordx2 s[18:19], s[0:1], 0x0
	s_lshr_b32 s0, s13, 9
	s_and_b32 s0, s0, 0x7ffffe
	s_sub_i32 s0, 0, s0
	s_and_b32 s1, s22, s0
	s_lshl_b32 s3, s1, 10
	s_lshl_b32 s14, s22, 10
	;; [unrolled: 1-line block ×3, first 2 shown]
	s_sub_i32 s20, s14, s3
	s_add_i32 s1, s1, s13
	s_add_i32 s21, s1, s20
	s_waitcnt lgkmcnt(0)
	s_sub_i32 s20, s21, s18
	s_sub_i32 s21, s21, s19
	;; [unrolled: 1-line block ×3, first 2 shown]
	s_min_u32 s20, s12, s20
	s_addk_i32 s21, 0x400
	s_or_b32 s0, s22, s0
	s_min_u32 s3, s12, s1
	s_add_i32 s1, s1, s13
	s_cmp_eq_u32 s0, -1
	s_cselect_b32 s0, s1, s21
	s_cselect_b32 s1, s3, s19
	s_min_u32 s0, s0, s12
	s_mov_b32 s19, s23
	s_sub_i32 s27, s1, s18
	s_sub_i32 s28, s0, s20
	s_lshl_b64 s[0:1], s[18:19], 1
	s_add_u32 s0, s4, s0
	s_mov_b32 s21, s23
	s_addc_u32 s1, s5, s1
	s_lshl_b64 s[30:31], s[20:21], 1
	s_add_u32 s4, s4, s30
	s_addc_u32 s5, s5, s31
	s_cmp_lt_u32 s2, s26
	v_mov_b32_e32 v3, 0
	s_cselect_b32 s2, 12, 18
	global_load_dword v1, v3, s[24:25] offset:14
	s_add_u32 s2, s24, s2
	s_addc_u32 s3, s25, 0
	global_load_ushort v2, v3, s[2:3]
	v_cmp_gt_u32_e32 vcc, s27, v0
	s_cmp_eq_u32 s22, s29
	s_waitcnt vmcnt(1)
	v_lshrrev_b32_e32 v4, 16, v1
	v_and_b32_e32 v1, 0xffff, v1
	v_mul_lo_u32 v1, v1, v4
	s_waitcnt vmcnt(0)
	v_mul_lo_u32 v1, v1, v2
	v_lshlrev_b32_e32 v2, 1, v0
	v_add_u32_e32 v4, v1, v0
	s_cbranch_scc1 .LBB21_3
; %bb.2:
	v_subrev_u32_e32 v1, s27, v0
	v_lshlrev_b32_e32 v8, 1, v1
	v_mov_b32_e32 v9, v3
	v_lshl_add_u64 v[6:7], s[0:1], 0, v[2:3]
	v_lshl_add_u64 v[8:9], s[4:5], 0, v[8:9]
	v_cndmask_b32_e32 v7, v9, v7, vcc
	v_cndmask_b32_e32 v6, v8, v6, vcc
	v_mov_b32_e32 v5, v3
	v_subrev_co_u32_e32 v8, vcc, s27, v4
	v_mov_b32_e32 v9, v3
	global_load_ushort v1, v[6:7], off
	v_lshl_add_u64 v[6:7], v[4:5], 1, s[0:1]
	v_lshl_add_u64 v[8:9], v[8:9], 1, s[4:5]
	v_cndmask_b32_e32 v7, v9, v7, vcc
	v_cndmask_b32_e32 v6, v8, v6, vcc
	global_load_ushort v3, v[6:7], off
	s_mov_b32 s2, 0x5040100
	s_add_i32 s13, s28, s27
	s_waitcnt vmcnt(0)
	v_perm_b32 v1, v3, v1, s2
	s_cbranch_execz .LBB21_4
	s_branch .LBB21_9
.LBB21_3:
                                        ; implicit-def: $vgpr1
                                        ; implicit-def: $sgpr13
.LBB21_4:
	s_add_i32 s13, s28, s27
	v_cmp_gt_u32_e32 vcc, s13, v0
	v_mov_b32_e32 v1, 0
	s_and_saveexec_b64 s[2:3], vcc
	s_cbranch_execz .LBB21_6
; %bb.5:
	v_mov_b32_e32 v3, 0
	v_subrev_u32_e32 v1, s27, v0
	v_lshlrev_b32_e32 v8, 1, v1
	v_mov_b32_e32 v9, v3
	v_lshl_add_u64 v[6:7], s[0:1], 0, v[2:3]
	v_lshl_add_u64 v[8:9], s[4:5], 0, v[8:9]
	v_cmp_gt_u32_e32 vcc, s27, v0
	s_nop 1
	v_cndmask_b32_e32 v7, v9, v7, vcc
	v_cndmask_b32_e32 v6, v8, v6, vcc
	global_load_ushort v1, v[6:7], off
	s_waitcnt vmcnt(0)
	v_and_b32_e32 v1, 0xffff, v1
.LBB21_6:
	s_or_b64 exec, exec, s[2:3]
	v_cmp_gt_u32_e32 vcc, s13, v4
	s_and_saveexec_b64 s[2:3], vcc
	s_cbranch_execz .LBB21_8
; %bb.7:
	v_mov_b32_e32 v5, 0
	v_lshl_add_u64 v[6:7], v[4:5], 1, s[0:1]
	v_subrev_co_u32_e32 v4, vcc, s27, v4
	v_lshl_add_u64 v[4:5], v[4:5], 1, s[4:5]
	s_nop 0
	v_cndmask_b32_e32 v5, v5, v7, vcc
	v_cndmask_b32_e32 v4, v4, v6, vcc
	global_load_ushort v3, v[4:5], off
	s_mov_b32 s0, 0x5040100
	s_waitcnt vmcnt(0)
	v_perm_b32 v1, v3, v1, s0
.LBB21_8:
	s_or_b64 exec, exec, s[2:3]
.LBB21_9:
	v_min_u32_e32 v3, s13, v2
	v_sub_u32_e64 v4, v3, s28 clamp
	v_min_u32_e32 v5, s27, v3
	v_cmp_lt_u32_e32 vcc, v4, v5
	ds_write_b16 v2, v1
	ds_write_b16_d16_hi v2, v1 offset:1024
	s_waitcnt lgkmcnt(0)
	s_barrier
	s_and_saveexec_b64 s[0:1], vcc
	s_cbranch_execz .LBB21_13
; %bb.10:
	v_lshlrev_b32_e32 v6, 1, v3
	v_lshl_add_u32 v6, s27, 1, v6
	s_mov_b64 s[2:3], 0
.LBB21_11:                              ; =>This Inner Loop Header: Depth=1
	v_add_u32_e32 v7, v5, v4
	v_lshrrev_b32_e32 v8, 1, v7
	v_not_b32_e32 v9, v8
	v_and_b32_e32 v7, -2, v7
	v_lshl_add_u32 v9, v9, 1, v6
	ds_read_u16 v7, v7
	ds_read_u16 v9, v9
	v_add_u32_e32 v10, 1, v8
	s_waitcnt lgkmcnt(1)
	v_and_b32_e32 v7, s15, v7
	s_waitcnt lgkmcnt(0)
	v_and_b32_e32 v9, s15, v9
	v_cmp_gt_u16_e32 vcc, v7, v9
	s_nop 1
	v_cndmask_b32_e32 v5, v5, v8, vcc
	v_cndmask_b32_e32 v4, v10, v4, vcc
	v_cmp_ge_u32_e32 vcc, v4, v5
	s_or_b64 s[2:3], vcc, s[2:3]
	s_andn2_b64 exec, exec, s[2:3]
	s_cbranch_execnz .LBB21_11
; %bb.12:
	s_or_b64 exec, exec, s[2:3]
.LBB21_13:
	s_or_b64 exec, exec, s[0:1]
	v_sub_u32_e32 v3, v3, v4
	v_add_u32_e32 v5, s27, v3
	v_cmp_ge_u32_e32 vcc, s27, v4
	v_cmp_ge_u32_e64 s[0:1], s13, v5
	s_or_b64 s[0:1], vcc, s[0:1]
	v_mov_b32_e32 v3, 0
	v_mov_b32_e32 v8, 0
	s_and_saveexec_b64 s[4:5], s[0:1]
	s_cbranch_execz .LBB21_19
; %bb.14:
	v_cmp_gt_u32_e32 vcc, s27, v4
                                        ; implicit-def: $vgpr1
	s_and_saveexec_b64 s[0:1], vcc
; %bb.15:
	v_lshlrev_b32_e32 v1, 1, v4
	ds_read_u16 v1, v1
; %bb.16:
	s_or_b64 exec, exec, s[0:1]
	v_cmp_le_u32_e64 s[0:1], s13, v5
	v_cmp_gt_u32_e64 s[2:3], s13, v5
                                        ; implicit-def: $vgpr3
	s_and_saveexec_b64 s[22:23], s[2:3]
; %bb.17:
	v_lshlrev_b32_e32 v3, 1, v5
	ds_read_u16 v3, v3
; %bb.18:
	s_or_b64 exec, exec, s[22:23]
	s_waitcnt lgkmcnt(0)
	v_and_b32_e32 v6, s15, v3
	v_and_b32_e32 v7, s15, v1
	v_cmp_le_u16_e64 s[2:3], v7, v6
	s_and_b64 s[2:3], vcc, s[2:3]
	s_or_b64 vcc, s[0:1], s[2:3]
	v_mov_b32_e32 v6, s13
	v_mov_b32_e32 v7, s27
	v_cndmask_b32_e32 v8, v5, v4, vcc
	v_cndmask_b32_e32 v6, v6, v7, vcc
	v_add_u32_e32 v7, 1, v8
	v_add_u32_e32 v6, -1, v6
	v_min_u32_e32 v6, v7, v6
	v_lshlrev_b32_e32 v6, 1, v6
	ds_read_u16 v6, v6
	v_cndmask_b32_e32 v9, v3, v1, vcc
	v_cndmask_b32_e32 v4, v4, v7, vcc
	v_cmp_gt_u32_e64 s[0:1], s27, v4
	s_waitcnt lgkmcnt(0)
	v_cndmask_b32_e32 v10, v6, v3, vcc
	v_cndmask_b32_e32 v1, v1, v6, vcc
	;; [unrolled: 1-line block ×3, first 2 shown]
	v_and_b32_e32 v5, s15, v10
	v_and_b32_e32 v6, s15, v1
	v_cmp_le_u16_e64 s[2:3], v6, v5
	v_cmp_le_u32_e32 vcc, s13, v3
	s_and_b64 s[0:1], s[0:1], s[2:3]
	s_or_b64 vcc, vcc, s[0:1]
	v_cndmask_b32_e32 v1, v10, v1, vcc
	s_mov_b32 s0, 0x5040100
	v_cndmask_b32_e32 v3, v3, v4, vcc
	v_perm_b32 v1, v1, v9, s0
.LBB21_19:
	s_or_b64 exec, exec, s[4:5]
	s_lshl_b64 s[0:1], s[18:19], 3
	s_add_u32 s18, s8, s0
	s_addc_u32 s19, s9, s1
	s_lshl_b64 s[0:1], s[20:21], 3
	s_add_u32 s8, s8, s0
	v_cndmask_b32_e64 v4, 0, 1, s[16:17]
	v_mov_b32_e32 v5, 0
	s_addc_u32 s9, s9, s1
	v_cmp_gt_u32_e64 s[4:5], s27, v0
	v_cmp_ne_u32_e64 s[0:1], 1, v4
	s_andn2_b64 vcc, exec, s[16:17]
	v_cmp_le_u32_e64 s[2:3], s27, v0
	s_barrier
	s_cbranch_vccnz .LBB21_21
; %bb.20:
	v_lshlrev_b32_e32 v4, 3, v0
	v_lshl_add_u64 v[6:7], s[18:19], 0, v[4:5]
	v_subrev_u32_e32 v4, s27, v0
	v_lshlrev_b32_e32 v4, 3, v4
	v_lshl_add_u64 v[4:5], s[8:9], 0, v[4:5]
	v_cndmask_b32_e64 v5, v5, v7, s[4:5]
	v_cndmask_b32_e64 v4, v4, v6, s[4:5]
	global_load_dwordx2 v[10:11], v[4:5], off
	v_or_b32_e32 v9, 0x200, v0
	v_mov_b32_e32 v4, s9
	v_mov_b32_e32 v5, s19
	;; [unrolled: 1-line block ×4, first 2 shown]
	v_subrev_u32_e32 v6, s27, v9
	v_cmp_gt_u32_e32 vcc, s27, v9
	v_mad_u32_u24 v7, v0, 6, v2
	s_nop 0
	v_cndmask_b32_e32 v5, v4, v5, vcc
	v_min_u32_e32 v6, v9, v6
	v_cndmask_b32_e32 v4, v12, v13, vcc
	s_mov_b64 s[4:5], -1
	s_waitcnt vmcnt(0)
	ds_write_b64 v7, v[10:11]
	s_cbranch_execz .LBB21_22
	s_branch .LBB21_31
.LBB21_21:
	s_mov_b64 s[4:5], 0
                                        ; implicit-def: $vgpr9
                                        ; implicit-def: $vgpr4_vgpr5
                                        ; implicit-def: $vgpr6
.LBB21_22:
	s_and_saveexec_b64 s[4:5], s[2:3]
	s_xor_b64 s[2:3], exec, s[4:5]
	s_cbranch_execz .LBB21_26
; %bb.23:
	v_subrev_u32_e32 v4, s27, v0
	v_cmp_gt_u32_e32 vcc, s28, v4
	s_and_saveexec_b64 s[4:5], vcc
	s_cbranch_execz .LBB21_25
; %bb.24:
	v_lshlrev_b32_e32 v4, 3, v4
	global_load_dwordx2 v[4:5], v4, s[8:9]
	v_mad_u32_u24 v6, v0, 6, v2
	s_waitcnt vmcnt(0)
	ds_write_b64 v6, v[4:5]
.LBB21_25:
	s_or_b64 exec, exec, s[4:5]
.LBB21_26:
	s_andn2_saveexec_b64 s[2:3], s[2:3]
	s_cbranch_execz .LBB21_28
; %bb.27:
	v_lshlrev_b32_e32 v4, 3, v0
	global_load_dwordx2 v[4:5], v4, s[18:19]
	v_mad_u32_u24 v6, v0, 6, v2
	s_waitcnt vmcnt(0)
	ds_write_b64 v6, v[4:5]
.LBB21_28:
	s_or_b64 exec, exec, s[2:3]
	v_or_b32_e32 v9, 0x200, v0
	v_cmp_le_u32_e32 vcc, s27, v9
	s_mov_b64 s[4:5], -1
	v_mov_b64_e32 v[4:5], s[18:19]
	v_mov_b32_e32 v6, v9
	s_and_saveexec_b64 s[2:3], vcc
; %bb.29:
	v_subrev_u32_e32 v6, s27, v9
	v_cmp_gt_u32_e32 vcc, s28, v6
	v_mov_b64_e32 v[4:5], s[8:9]
	s_orn2_b64 s[4:5], vcc, exec
; %bb.30:
	s_or_b64 exec, exec, s[2:3]
.LBB21_31:
	s_and_saveexec_b64 s[2:3], s[4:5]
	s_cbranch_execz .LBB21_33
; %bb.32:
	v_mov_b32_e32 v7, 0
	v_lshl_add_u64 v[4:5], v[6:7], 3, v[4:5]
	global_load_dwordx2 v[4:5], v[4:5], off
	v_lshlrev_b32_e32 v6, 3, v9
	s_waitcnt vmcnt(0)
	ds_write_b64 v6, v[4:5]
.LBB21_33:
	s_or_b64 exec, exec, s[2:3]
	s_and_b64 vcc, exec, s[0:1]
	v_add_u32_e32 v4, s14, v2
	s_waitcnt lgkmcnt(0)
	s_barrier
	s_cbranch_vccnz .LBB21_35
; %bb.34:
	v_lshlrev_b32_e32 v5, 3, v8
	ds_read_b64 v[6:7], v5
	v_mov_b32_e32 v5, 0
	v_lshl_add_u64 v[10:11], v[4:5], 3, s[10:11]
	s_mov_b64 s[0:1], -1
	s_waitcnt lgkmcnt(0)
	global_store_dwordx2 v[10:11], v[6:7], off
	s_cbranch_execz .LBB21_36
	s_branch .LBB21_41
.LBB21_35:
	s_mov_b64 s[0:1], 0
.LBB21_36:
	v_cmp_gt_u32_e32 vcc, s13, v2
	s_and_saveexec_b64 s[2:3], vcc
	s_cbranch_execz .LBB21_38
; %bb.37:
	v_lshlrev_b32_e32 v5, 3, v8
	ds_read_b64 v[6:7], v5
	v_mov_b32_e32 v5, 0
	v_lshl_add_u64 v[8:9], v[4:5], 3, s[10:11]
	s_waitcnt lgkmcnt(0)
	global_store_dwordx2 v[8:9], v[6:7], off
.LBB21_38:
	s_or_b64 exec, exec, s[2:3]
	v_or_b32_e32 v5, 1, v2
	v_cmp_gt_u32_e32 vcc, s13, v5
	s_and_saveexec_b64 s[2:3], vcc
; %bb.39:
	v_mov_b32_e32 v5, 0
	s_or_b64 s[0:1], s[0:1], exec
; %bb.40:
	s_or_b64 exec, exec, s[2:3]
.LBB21_41:
	s_and_saveexec_b64 s[2:3], s[0:1]
	s_cbranch_execz .LBB21_43
; %bb.42:
	v_lshlrev_b32_e32 v3, 3, v3
	ds_read_b64 v[6:7], v3
	v_lshl_add_u64 v[4:5], v[4:5], 3, s[10:11]
	s_waitcnt lgkmcnt(0)
	global_store_dwordx2 v[4:5], v[6:7], off offset:8
.LBB21_43:
	s_or_b64 exec, exec, s[2:3]
	v_lshrrev_b32_e32 v4, 3, v0
	v_and_b32_e32 v4, 60, v4
	v_lshrrev_b32_e32 v3, 4, v0
	v_lshl_add_u32 v4, v2, 1, v4
	s_barrier
	s_barrier
	ds_write_b32 v4, v1
	v_and_b32_e32 v1, 28, v3
	s_mov_b32 s15, 0
	v_add_u32_e32 v4, v1, v2
	v_or_b32_e32 v1, 0x200, v0
	s_lshl_b64 s[0:1], s[14:15], 1
	v_lshrrev_b32_e32 v3, 4, v1
	s_add_u32 s0, s6, s0
	v_and_b32_e32 v3, 60, v3
	s_addc_u32 s1, s7, s1
	v_add_u32_e32 v6, v3, v2
	v_mov_b32_e32 v3, 0
	v_lshl_add_u64 v[2:3], s[0:1], 0, v[2:3]
	s_and_b64 vcc, exec, s[16:17]
	s_waitcnt lgkmcnt(0)
	s_cbranch_vccz .LBB21_45
; %bb.44:
	s_barrier
	ds_read_u16 v7, v4
	ds_read_u16 v5, v6 offset:1024
	s_mov_b64 s[0:1], -1
	s_waitcnt lgkmcnt(1)
	global_store_short v[2:3], v7, off
	s_cbranch_execz .LBB21_46
	s_branch .LBB21_49
.LBB21_45:
	s_mov_b64 s[0:1], 0
                                        ; implicit-def: $vgpr5
.LBB21_46:
	s_barrier
	s_waitcnt lgkmcnt(0)
	ds_read_u16 v5, v6 offset:1024
	s_sub_i32 s2, s12, s14
	v_cmp_gt_u32_e32 vcc, s2, v0
	s_and_saveexec_b64 s[0:1], vcc
	s_cbranch_execz .LBB21_48
; %bb.47:
	ds_read_u16 v0, v4
	s_waitcnt lgkmcnt(0)
	global_store_short v[2:3], v0, off
.LBB21_48:
	s_or_b64 exec, exec, s[0:1]
	v_cmp_gt_u32_e64 s[0:1], s2, v1
.LBB21_49:
	s_and_saveexec_b64 s[2:3], s[0:1]
	s_cbranch_execz .LBB21_51
; %bb.50:
	s_waitcnt lgkmcnt(0)
	global_store_short v[2:3], v5, off offset:1024
.LBB21_51:
	s_endpgm
	.section	.rodata,"a",@progbits
	.p2align	6, 0x0
	.amdhsa_kernel _ZN7rocprim17ROCPRIM_304000_NS6detail35device_block_merge_mergepath_kernelINS1_37wrapped_merge_sort_block_merge_configINS0_14default_configEtN2at4cuda3cub6detail10OpaqueTypeILi8EEEEEPtSC_PSA_SD_jNS1_19radix_merge_compareILb0ELb1EtNS0_19identity_decomposerEEEEEvT0_T1_T2_T3_T4_SL_jT5_PKSL_NS1_7vsmem_tE
		.amdhsa_group_segment_fixed_size 8208
		.amdhsa_private_segment_fixed_size 0
		.amdhsa_kernarg_size 320
		.amdhsa_user_sgpr_count 2
		.amdhsa_user_sgpr_dispatch_ptr 0
		.amdhsa_user_sgpr_queue_ptr 0
		.amdhsa_user_sgpr_kernarg_segment_ptr 1
		.amdhsa_user_sgpr_dispatch_id 0
		.amdhsa_user_sgpr_kernarg_preload_length 0
		.amdhsa_user_sgpr_kernarg_preload_offset 0
		.amdhsa_user_sgpr_private_segment_size 0
		.amdhsa_uses_dynamic_stack 0
		.amdhsa_enable_private_segment 0
		.amdhsa_system_sgpr_workgroup_id_x 1
		.amdhsa_system_sgpr_workgroup_id_y 1
		.amdhsa_system_sgpr_workgroup_id_z 1
		.amdhsa_system_sgpr_workgroup_info 0
		.amdhsa_system_vgpr_workitem_id 0
		.amdhsa_next_free_vgpr 14
		.amdhsa_next_free_sgpr 32
		.amdhsa_accum_offset 16
		.amdhsa_reserve_vcc 1
		.amdhsa_float_round_mode_32 0
		.amdhsa_float_round_mode_16_64 0
		.amdhsa_float_denorm_mode_32 3
		.amdhsa_float_denorm_mode_16_64 3
		.amdhsa_dx10_clamp 1
		.amdhsa_ieee_mode 1
		.amdhsa_fp16_overflow 0
		.amdhsa_tg_split 0
		.amdhsa_exception_fp_ieee_invalid_op 0
		.amdhsa_exception_fp_denorm_src 0
		.amdhsa_exception_fp_ieee_div_zero 0
		.amdhsa_exception_fp_ieee_overflow 0
		.amdhsa_exception_fp_ieee_underflow 0
		.amdhsa_exception_fp_ieee_inexact 0
		.amdhsa_exception_int_div_zero 0
	.end_amdhsa_kernel
	.section	.text._ZN7rocprim17ROCPRIM_304000_NS6detail35device_block_merge_mergepath_kernelINS1_37wrapped_merge_sort_block_merge_configINS0_14default_configEtN2at4cuda3cub6detail10OpaqueTypeILi8EEEEEPtSC_PSA_SD_jNS1_19radix_merge_compareILb0ELb1EtNS0_19identity_decomposerEEEEEvT0_T1_T2_T3_T4_SL_jT5_PKSL_NS1_7vsmem_tE,"axG",@progbits,_ZN7rocprim17ROCPRIM_304000_NS6detail35device_block_merge_mergepath_kernelINS1_37wrapped_merge_sort_block_merge_configINS0_14default_configEtN2at4cuda3cub6detail10OpaqueTypeILi8EEEEEPtSC_PSA_SD_jNS1_19radix_merge_compareILb0ELb1EtNS0_19identity_decomposerEEEEEvT0_T1_T2_T3_T4_SL_jT5_PKSL_NS1_7vsmem_tE,comdat
.Lfunc_end21:
	.size	_ZN7rocprim17ROCPRIM_304000_NS6detail35device_block_merge_mergepath_kernelINS1_37wrapped_merge_sort_block_merge_configINS0_14default_configEtN2at4cuda3cub6detail10OpaqueTypeILi8EEEEEPtSC_PSA_SD_jNS1_19radix_merge_compareILb0ELb1EtNS0_19identity_decomposerEEEEEvT0_T1_T2_T3_T4_SL_jT5_PKSL_NS1_7vsmem_tE, .Lfunc_end21-_ZN7rocprim17ROCPRIM_304000_NS6detail35device_block_merge_mergepath_kernelINS1_37wrapped_merge_sort_block_merge_configINS0_14default_configEtN2at4cuda3cub6detail10OpaqueTypeILi8EEEEEPtSC_PSA_SD_jNS1_19radix_merge_compareILb0ELb1EtNS0_19identity_decomposerEEEEEvT0_T1_T2_T3_T4_SL_jT5_PKSL_NS1_7vsmem_tE
                                        ; -- End function
	.set _ZN7rocprim17ROCPRIM_304000_NS6detail35device_block_merge_mergepath_kernelINS1_37wrapped_merge_sort_block_merge_configINS0_14default_configEtN2at4cuda3cub6detail10OpaqueTypeILi8EEEEEPtSC_PSA_SD_jNS1_19radix_merge_compareILb0ELb1EtNS0_19identity_decomposerEEEEEvT0_T1_T2_T3_T4_SL_jT5_PKSL_NS1_7vsmem_tE.num_vgpr, 14
	.set _ZN7rocprim17ROCPRIM_304000_NS6detail35device_block_merge_mergepath_kernelINS1_37wrapped_merge_sort_block_merge_configINS0_14default_configEtN2at4cuda3cub6detail10OpaqueTypeILi8EEEEEPtSC_PSA_SD_jNS1_19radix_merge_compareILb0ELb1EtNS0_19identity_decomposerEEEEEvT0_T1_T2_T3_T4_SL_jT5_PKSL_NS1_7vsmem_tE.num_agpr, 0
	.set _ZN7rocprim17ROCPRIM_304000_NS6detail35device_block_merge_mergepath_kernelINS1_37wrapped_merge_sort_block_merge_configINS0_14default_configEtN2at4cuda3cub6detail10OpaqueTypeILi8EEEEEPtSC_PSA_SD_jNS1_19radix_merge_compareILb0ELb1EtNS0_19identity_decomposerEEEEEvT0_T1_T2_T3_T4_SL_jT5_PKSL_NS1_7vsmem_tE.numbered_sgpr, 32
	.set _ZN7rocprim17ROCPRIM_304000_NS6detail35device_block_merge_mergepath_kernelINS1_37wrapped_merge_sort_block_merge_configINS0_14default_configEtN2at4cuda3cub6detail10OpaqueTypeILi8EEEEEPtSC_PSA_SD_jNS1_19radix_merge_compareILb0ELb1EtNS0_19identity_decomposerEEEEEvT0_T1_T2_T3_T4_SL_jT5_PKSL_NS1_7vsmem_tE.num_named_barrier, 0
	.set _ZN7rocprim17ROCPRIM_304000_NS6detail35device_block_merge_mergepath_kernelINS1_37wrapped_merge_sort_block_merge_configINS0_14default_configEtN2at4cuda3cub6detail10OpaqueTypeILi8EEEEEPtSC_PSA_SD_jNS1_19radix_merge_compareILb0ELb1EtNS0_19identity_decomposerEEEEEvT0_T1_T2_T3_T4_SL_jT5_PKSL_NS1_7vsmem_tE.private_seg_size, 0
	.set _ZN7rocprim17ROCPRIM_304000_NS6detail35device_block_merge_mergepath_kernelINS1_37wrapped_merge_sort_block_merge_configINS0_14default_configEtN2at4cuda3cub6detail10OpaqueTypeILi8EEEEEPtSC_PSA_SD_jNS1_19radix_merge_compareILb0ELb1EtNS0_19identity_decomposerEEEEEvT0_T1_T2_T3_T4_SL_jT5_PKSL_NS1_7vsmem_tE.uses_vcc, 1
	.set _ZN7rocprim17ROCPRIM_304000_NS6detail35device_block_merge_mergepath_kernelINS1_37wrapped_merge_sort_block_merge_configINS0_14default_configEtN2at4cuda3cub6detail10OpaqueTypeILi8EEEEEPtSC_PSA_SD_jNS1_19radix_merge_compareILb0ELb1EtNS0_19identity_decomposerEEEEEvT0_T1_T2_T3_T4_SL_jT5_PKSL_NS1_7vsmem_tE.uses_flat_scratch, 0
	.set _ZN7rocprim17ROCPRIM_304000_NS6detail35device_block_merge_mergepath_kernelINS1_37wrapped_merge_sort_block_merge_configINS0_14default_configEtN2at4cuda3cub6detail10OpaqueTypeILi8EEEEEPtSC_PSA_SD_jNS1_19radix_merge_compareILb0ELb1EtNS0_19identity_decomposerEEEEEvT0_T1_T2_T3_T4_SL_jT5_PKSL_NS1_7vsmem_tE.has_dyn_sized_stack, 0
	.set _ZN7rocprim17ROCPRIM_304000_NS6detail35device_block_merge_mergepath_kernelINS1_37wrapped_merge_sort_block_merge_configINS0_14default_configEtN2at4cuda3cub6detail10OpaqueTypeILi8EEEEEPtSC_PSA_SD_jNS1_19radix_merge_compareILb0ELb1EtNS0_19identity_decomposerEEEEEvT0_T1_T2_T3_T4_SL_jT5_PKSL_NS1_7vsmem_tE.has_recursion, 0
	.set _ZN7rocprim17ROCPRIM_304000_NS6detail35device_block_merge_mergepath_kernelINS1_37wrapped_merge_sort_block_merge_configINS0_14default_configEtN2at4cuda3cub6detail10OpaqueTypeILi8EEEEEPtSC_PSA_SD_jNS1_19radix_merge_compareILb0ELb1EtNS0_19identity_decomposerEEEEEvT0_T1_T2_T3_T4_SL_jT5_PKSL_NS1_7vsmem_tE.has_indirect_call, 0
	.section	.AMDGPU.csdata,"",@progbits
; Kernel info:
; codeLenInByte = 1896
; TotalNumSgprs: 38
; NumVgprs: 14
; NumAgprs: 0
; TotalNumVgprs: 14
; ScratchSize: 0
; MemoryBound: 0
; FloatMode: 240
; IeeeMode: 1
; LDSByteSize: 8208 bytes/workgroup (compile time only)
; SGPRBlocks: 4
; VGPRBlocks: 1
; NumSGPRsForWavesPerEU: 38
; NumVGPRsForWavesPerEU: 14
; AccumOffset: 16
; Occupancy: 8
; WaveLimiterHint : 1
; COMPUTE_PGM_RSRC2:SCRATCH_EN: 0
; COMPUTE_PGM_RSRC2:USER_SGPR: 2
; COMPUTE_PGM_RSRC2:TRAP_HANDLER: 0
; COMPUTE_PGM_RSRC2:TGID_X_EN: 1
; COMPUTE_PGM_RSRC2:TGID_Y_EN: 1
; COMPUTE_PGM_RSRC2:TGID_Z_EN: 1
; COMPUTE_PGM_RSRC2:TIDIG_COMP_CNT: 0
; COMPUTE_PGM_RSRC3_GFX90A:ACCUM_OFFSET: 3
; COMPUTE_PGM_RSRC3_GFX90A:TG_SPLIT: 0
	.section	.text._ZN7rocprim17ROCPRIM_304000_NS6detail33device_block_merge_oddeven_kernelINS1_37wrapped_merge_sort_block_merge_configINS0_14default_configEtN2at4cuda3cub6detail10OpaqueTypeILi8EEEEEPtSC_PSA_SD_jNS1_19radix_merge_compareILb0ELb1EtNS0_19identity_decomposerEEEEEvT0_T1_T2_T3_T4_SL_T5_,"axG",@progbits,_ZN7rocprim17ROCPRIM_304000_NS6detail33device_block_merge_oddeven_kernelINS1_37wrapped_merge_sort_block_merge_configINS0_14default_configEtN2at4cuda3cub6detail10OpaqueTypeILi8EEEEEPtSC_PSA_SD_jNS1_19radix_merge_compareILb0ELb1EtNS0_19identity_decomposerEEEEEvT0_T1_T2_T3_T4_SL_T5_,comdat
	.protected	_ZN7rocprim17ROCPRIM_304000_NS6detail33device_block_merge_oddeven_kernelINS1_37wrapped_merge_sort_block_merge_configINS0_14default_configEtN2at4cuda3cub6detail10OpaqueTypeILi8EEEEEPtSC_PSA_SD_jNS1_19radix_merge_compareILb0ELb1EtNS0_19identity_decomposerEEEEEvT0_T1_T2_T3_T4_SL_T5_ ; -- Begin function _ZN7rocprim17ROCPRIM_304000_NS6detail33device_block_merge_oddeven_kernelINS1_37wrapped_merge_sort_block_merge_configINS0_14default_configEtN2at4cuda3cub6detail10OpaqueTypeILi8EEEEEPtSC_PSA_SD_jNS1_19radix_merge_compareILb0ELb1EtNS0_19identity_decomposerEEEEEvT0_T1_T2_T3_T4_SL_T5_
	.globl	_ZN7rocprim17ROCPRIM_304000_NS6detail33device_block_merge_oddeven_kernelINS1_37wrapped_merge_sort_block_merge_configINS0_14default_configEtN2at4cuda3cub6detail10OpaqueTypeILi8EEEEEPtSC_PSA_SD_jNS1_19radix_merge_compareILb0ELb1EtNS0_19identity_decomposerEEEEEvT0_T1_T2_T3_T4_SL_T5_
	.p2align	8
	.type	_ZN7rocprim17ROCPRIM_304000_NS6detail33device_block_merge_oddeven_kernelINS1_37wrapped_merge_sort_block_merge_configINS0_14default_configEtN2at4cuda3cub6detail10OpaqueTypeILi8EEEEEPtSC_PSA_SD_jNS1_19radix_merge_compareILb0ELb1EtNS0_19identity_decomposerEEEEEvT0_T1_T2_T3_T4_SL_T5_,@function
_ZN7rocprim17ROCPRIM_304000_NS6detail33device_block_merge_oddeven_kernelINS1_37wrapped_merge_sort_block_merge_configINS0_14default_configEtN2at4cuda3cub6detail10OpaqueTypeILi8EEEEEPtSC_PSA_SD_jNS1_19radix_merge_compareILb0ELb1EtNS0_19identity_decomposerEEEEEvT0_T1_T2_T3_T4_SL_T5_: ; @_ZN7rocprim17ROCPRIM_304000_NS6detail33device_block_merge_oddeven_kernelINS1_37wrapped_merge_sort_block_merge_configINS0_14default_configEtN2at4cuda3cub6detail10OpaqueTypeILi8EEEEEPtSC_PSA_SD_jNS1_19radix_merge_compareILb0ELb1EtNS0_19identity_decomposerEEEEEvT0_T1_T2_T3_T4_SL_T5_
; %bb.0:
	s_load_dwordx4 s[16:19], s[0:1], 0x20
	s_waitcnt lgkmcnt(0)
	s_lshr_b32 s3, s16, 8
	s_cmp_eq_u32 s2, s3
	s_cselect_b64 s[6:7], -1, 0
	s_cmp_lg_u32 s2, s3
	s_cselect_b64 s[8:9], -1, 0
	s_lshl_b32 s20, s2, 8
	s_sub_i32 s3, s16, s20
	v_cmp_gt_u32_e64 s[4:5], s3, v0
	s_or_b64 s[8:9], s[8:9], s[4:5]
	s_and_saveexec_b64 s[10:11], s[8:9]
	s_cbranch_execz .LBB22_24
; %bb.1:
	s_load_dwordx8 s[8:15], s[0:1], 0x0
	s_mov_b32 s21, 0
	s_lshl_b64 s[0:1], s[20:21], 1
	v_lshlrev_b32_e32 v5, 3, v0
	v_lshlrev_b32_e32 v1, 1, v0
	s_waitcnt lgkmcnt(0)
	s_add_u32 s0, s8, s0
	s_addc_u32 s1, s9, s1
	s_lshl_b64 s[22:23], s[20:21], 3
	s_add_u32 s12, s12, s22
	s_addc_u32 s13, s13, s23
	global_load_dwordx2 v[2:3], v5, s[12:13]
	global_load_ushort v4, v1, s[0:1]
	s_lshr_b32 s0, s17, 8
	s_sub_i32 s1, 0, s0
	s_and_b32 s1, s2, s1
	s_and_b32 s0, s1, s0
	s_lshl_b32 s19, s1, 8
	s_sub_i32 s12, 0, s17
	s_cmp_eq_u32 s0, 0
	s_cselect_b64 s[0:1], -1, 0
	s_and_b64 s[2:3], s[0:1], exec
	s_cselect_b32 s12, s17, s12
	s_add_i32 s12, s12, s19
	s_mov_b64 s[2:3], -1
	s_cmp_gt_u32 s16, s12
	v_add_u32_e32 v0, s20, v0
	s_cbranch_scc1 .LBB22_9
; %bb.2:
	s_and_b64 vcc, exec, s[6:7]
	s_cbranch_vccz .LBB22_6
; %bb.3:
	v_cmp_gt_u32_e32 vcc, s16, v0
	s_and_saveexec_b64 s[2:3], vcc
	s_cbranch_execz .LBB22_5
; %bb.4:
	v_mov_b32_e32 v1, 0
	v_lshl_add_u64 v[8:9], v[0:1], 1, s[10:11]
	v_lshl_add_u64 v[6:7], v[0:1], 3, s[14:15]
	s_waitcnt vmcnt(0)
	global_store_short v[8:9], v4, off
	global_store_dwordx2 v[6:7], v[2:3], off
.LBB22_5:
	s_or_b64 exec, exec, s[2:3]
	s_mov_b64 s[2:3], 0
.LBB22_6:
	s_andn2_b64 vcc, exec, s[2:3]
	s_cbranch_vccnz .LBB22_8
; %bb.7:
	v_mov_b32_e32 v1, 0
	v_lshl_add_u64 v[6:7], v[0:1], 1, s[10:11]
	v_lshl_add_u64 v[8:9], v[0:1], 3, s[14:15]
	s_waitcnt vmcnt(0)
	global_store_short v[6:7], v4, off
	global_store_dwordx2 v[8:9], v[2:3], off
.LBB22_8:
	s_mov_b64 s[2:3], 0
.LBB22_9:
	s_andn2_b64 vcc, exec, s[2:3]
	s_cbranch_vccnz .LBB22_24
; %bb.10:
	s_min_u32 s13, s12, s16
	s_add_i32 s2, s13, s17
	s_min_u32 s16, s2, s16
	s_min_u32 s2, s19, s13
	s_add_i32 s19, s19, s13
	v_subrev_u32_e32 v0, s19, v0
	v_add_u32_e32 v0, s2, v0
	s_waitcnt vmcnt(0)
	v_and_b32_e32 v1, s18, v4
	s_mov_b64 s[2:3], -1
	s_and_b64 vcc, exec, s[6:7]
	s_cbranch_vccz .LBB22_18
; %bb.11:
	s_and_saveexec_b64 s[2:3], s[4:5]
	s_cbranch_execz .LBB22_17
; %bb.12:
	s_cmp_ge_u32 s12, s16
	v_mov_b32_e32 v5, s13
	s_cbranch_scc1 .LBB22_16
; %bb.13:
	s_mov_b64 s[4:5], 0
	v_mov_b32_e32 v6, s16
	v_mov_b32_e32 v5, s13
.LBB22_14:                              ; =>This Inner Loop Header: Depth=1
	v_add_u32_e32 v7, v5, v6
	v_and_b32_e32 v8, -2, v7
	global_load_ushort v8, v8, s[8:9]
	v_lshrrev_b32_e32 v7, 1, v7
	v_add_u32_e32 v9, 1, v7
	s_waitcnt vmcnt(0)
	v_and_b32_e32 v8, s18, v8
	v_cmp_gt_u16_e32 vcc, v1, v8
	s_nop 1
	v_cndmask_b32_e64 v10, 0, 1, vcc
	v_cmp_le_u16_e32 vcc, v8, v1
	s_nop 1
	v_cndmask_b32_e64 v8, 0, 1, vcc
	v_cndmask_b32_e64 v8, v8, v10, s[0:1]
	v_and_b32_e32 v8, 1, v8
	v_cmp_eq_u32_e32 vcc, 1, v8
	s_nop 1
	v_cndmask_b32_e32 v6, v7, v6, vcc
	v_cndmask_b32_e32 v5, v5, v9, vcc
	v_cmp_ge_u32_e32 vcc, v5, v6
	s_or_b64 s[4:5], vcc, s[4:5]
	s_andn2_b64 exec, exec, s[4:5]
	s_cbranch_execnz .LBB22_14
; %bb.15:
	s_or_b64 exec, exec, s[4:5]
.LBB22_16:
	v_add_u32_e32 v6, v5, v0
	v_mov_b32_e32 v7, 0
	v_lshl_add_u64 v[8:9], v[6:7], 1, s[10:11]
	v_lshl_add_u64 v[6:7], v[6:7], 3, s[14:15]
	global_store_short v[8:9], v4, off
	global_store_dwordx2 v[6:7], v[2:3], off
.LBB22_17:
	s_or_b64 exec, exec, s[2:3]
	s_mov_b64 s[2:3], 0
.LBB22_18:
	s_andn2_b64 vcc, exec, s[2:3]
	s_cbranch_vccnz .LBB22_24
; %bb.19:
	s_cmp_ge_u32 s12, s16
	v_mov_b32_e32 v5, s13
	s_cbranch_scc1 .LBB22_23
; %bb.20:
	s_mov_b64 s[2:3], 0
	v_mov_b32_e32 v6, s16
	v_mov_b32_e32 v5, s13
.LBB22_21:                              ; =>This Inner Loop Header: Depth=1
	v_add_u32_e32 v7, v5, v6
	v_and_b32_e32 v8, -2, v7
	global_load_ushort v8, v8, s[8:9]
	v_lshrrev_b32_e32 v7, 1, v7
	v_add_u32_e32 v9, 1, v7
	s_waitcnt vmcnt(0)
	v_and_b32_e32 v8, s18, v8
	v_cmp_gt_u16_e32 vcc, v1, v8
	s_nop 1
	v_cndmask_b32_e64 v10, 0, 1, vcc
	v_cmp_le_u16_e32 vcc, v8, v1
	s_nop 1
	v_cndmask_b32_e64 v8, 0, 1, vcc
	v_cndmask_b32_e64 v8, v8, v10, s[0:1]
	v_and_b32_e32 v8, 1, v8
	v_cmp_eq_u32_e32 vcc, 1, v8
	s_nop 1
	v_cndmask_b32_e32 v6, v7, v6, vcc
	v_cndmask_b32_e32 v5, v5, v9, vcc
	v_cmp_ge_u32_e32 vcc, v5, v6
	s_or_b64 s[2:3], vcc, s[2:3]
	s_andn2_b64 exec, exec, s[2:3]
	s_cbranch_execnz .LBB22_21
; %bb.22:
	s_or_b64 exec, exec, s[2:3]
.LBB22_23:
	v_add_u32_e32 v0, v5, v0
	v_mov_b32_e32 v1, 0
	v_lshl_add_u64 v[6:7], v[0:1], 1, s[10:11]
	v_lshl_add_u64 v[0:1], v[0:1], 3, s[14:15]
	global_store_short v[6:7], v4, off
	global_store_dwordx2 v[0:1], v[2:3], off
.LBB22_24:
	s_endpgm
	.section	.rodata,"a",@progbits
	.p2align	6, 0x0
	.amdhsa_kernel _ZN7rocprim17ROCPRIM_304000_NS6detail33device_block_merge_oddeven_kernelINS1_37wrapped_merge_sort_block_merge_configINS0_14default_configEtN2at4cuda3cub6detail10OpaqueTypeILi8EEEEEPtSC_PSA_SD_jNS1_19radix_merge_compareILb0ELb1EtNS0_19identity_decomposerEEEEEvT0_T1_T2_T3_T4_SL_T5_
		.amdhsa_group_segment_fixed_size 0
		.amdhsa_private_segment_fixed_size 0
		.amdhsa_kernarg_size 44
		.amdhsa_user_sgpr_count 2
		.amdhsa_user_sgpr_dispatch_ptr 0
		.amdhsa_user_sgpr_queue_ptr 0
		.amdhsa_user_sgpr_kernarg_segment_ptr 1
		.amdhsa_user_sgpr_dispatch_id 0
		.amdhsa_user_sgpr_kernarg_preload_length 0
		.amdhsa_user_sgpr_kernarg_preload_offset 0
		.amdhsa_user_sgpr_private_segment_size 0
		.amdhsa_uses_dynamic_stack 0
		.amdhsa_enable_private_segment 0
		.amdhsa_system_sgpr_workgroup_id_x 1
		.amdhsa_system_sgpr_workgroup_id_y 0
		.amdhsa_system_sgpr_workgroup_id_z 0
		.amdhsa_system_sgpr_workgroup_info 0
		.amdhsa_system_vgpr_workitem_id 0
		.amdhsa_next_free_vgpr 11
		.amdhsa_next_free_sgpr 24
		.amdhsa_accum_offset 12
		.amdhsa_reserve_vcc 1
		.amdhsa_float_round_mode_32 0
		.amdhsa_float_round_mode_16_64 0
		.amdhsa_float_denorm_mode_32 3
		.amdhsa_float_denorm_mode_16_64 3
		.amdhsa_dx10_clamp 1
		.amdhsa_ieee_mode 1
		.amdhsa_fp16_overflow 0
		.amdhsa_tg_split 0
		.amdhsa_exception_fp_ieee_invalid_op 0
		.amdhsa_exception_fp_denorm_src 0
		.amdhsa_exception_fp_ieee_div_zero 0
		.amdhsa_exception_fp_ieee_overflow 0
		.amdhsa_exception_fp_ieee_underflow 0
		.amdhsa_exception_fp_ieee_inexact 0
		.amdhsa_exception_int_div_zero 0
	.end_amdhsa_kernel
	.section	.text._ZN7rocprim17ROCPRIM_304000_NS6detail33device_block_merge_oddeven_kernelINS1_37wrapped_merge_sort_block_merge_configINS0_14default_configEtN2at4cuda3cub6detail10OpaqueTypeILi8EEEEEPtSC_PSA_SD_jNS1_19radix_merge_compareILb0ELb1EtNS0_19identity_decomposerEEEEEvT0_T1_T2_T3_T4_SL_T5_,"axG",@progbits,_ZN7rocprim17ROCPRIM_304000_NS6detail33device_block_merge_oddeven_kernelINS1_37wrapped_merge_sort_block_merge_configINS0_14default_configEtN2at4cuda3cub6detail10OpaqueTypeILi8EEEEEPtSC_PSA_SD_jNS1_19radix_merge_compareILb0ELb1EtNS0_19identity_decomposerEEEEEvT0_T1_T2_T3_T4_SL_T5_,comdat
.Lfunc_end22:
	.size	_ZN7rocprim17ROCPRIM_304000_NS6detail33device_block_merge_oddeven_kernelINS1_37wrapped_merge_sort_block_merge_configINS0_14default_configEtN2at4cuda3cub6detail10OpaqueTypeILi8EEEEEPtSC_PSA_SD_jNS1_19radix_merge_compareILb0ELb1EtNS0_19identity_decomposerEEEEEvT0_T1_T2_T3_T4_SL_T5_, .Lfunc_end22-_ZN7rocprim17ROCPRIM_304000_NS6detail33device_block_merge_oddeven_kernelINS1_37wrapped_merge_sort_block_merge_configINS0_14default_configEtN2at4cuda3cub6detail10OpaqueTypeILi8EEEEEPtSC_PSA_SD_jNS1_19radix_merge_compareILb0ELb1EtNS0_19identity_decomposerEEEEEvT0_T1_T2_T3_T4_SL_T5_
                                        ; -- End function
	.set _ZN7rocprim17ROCPRIM_304000_NS6detail33device_block_merge_oddeven_kernelINS1_37wrapped_merge_sort_block_merge_configINS0_14default_configEtN2at4cuda3cub6detail10OpaqueTypeILi8EEEEEPtSC_PSA_SD_jNS1_19radix_merge_compareILb0ELb1EtNS0_19identity_decomposerEEEEEvT0_T1_T2_T3_T4_SL_T5_.num_vgpr, 11
	.set _ZN7rocprim17ROCPRIM_304000_NS6detail33device_block_merge_oddeven_kernelINS1_37wrapped_merge_sort_block_merge_configINS0_14default_configEtN2at4cuda3cub6detail10OpaqueTypeILi8EEEEEPtSC_PSA_SD_jNS1_19radix_merge_compareILb0ELb1EtNS0_19identity_decomposerEEEEEvT0_T1_T2_T3_T4_SL_T5_.num_agpr, 0
	.set _ZN7rocprim17ROCPRIM_304000_NS6detail33device_block_merge_oddeven_kernelINS1_37wrapped_merge_sort_block_merge_configINS0_14default_configEtN2at4cuda3cub6detail10OpaqueTypeILi8EEEEEPtSC_PSA_SD_jNS1_19radix_merge_compareILb0ELb1EtNS0_19identity_decomposerEEEEEvT0_T1_T2_T3_T4_SL_T5_.numbered_sgpr, 24
	.set _ZN7rocprim17ROCPRIM_304000_NS6detail33device_block_merge_oddeven_kernelINS1_37wrapped_merge_sort_block_merge_configINS0_14default_configEtN2at4cuda3cub6detail10OpaqueTypeILi8EEEEEPtSC_PSA_SD_jNS1_19radix_merge_compareILb0ELb1EtNS0_19identity_decomposerEEEEEvT0_T1_T2_T3_T4_SL_T5_.num_named_barrier, 0
	.set _ZN7rocprim17ROCPRIM_304000_NS6detail33device_block_merge_oddeven_kernelINS1_37wrapped_merge_sort_block_merge_configINS0_14default_configEtN2at4cuda3cub6detail10OpaqueTypeILi8EEEEEPtSC_PSA_SD_jNS1_19radix_merge_compareILb0ELb1EtNS0_19identity_decomposerEEEEEvT0_T1_T2_T3_T4_SL_T5_.private_seg_size, 0
	.set _ZN7rocprim17ROCPRIM_304000_NS6detail33device_block_merge_oddeven_kernelINS1_37wrapped_merge_sort_block_merge_configINS0_14default_configEtN2at4cuda3cub6detail10OpaqueTypeILi8EEEEEPtSC_PSA_SD_jNS1_19radix_merge_compareILb0ELb1EtNS0_19identity_decomposerEEEEEvT0_T1_T2_T3_T4_SL_T5_.uses_vcc, 1
	.set _ZN7rocprim17ROCPRIM_304000_NS6detail33device_block_merge_oddeven_kernelINS1_37wrapped_merge_sort_block_merge_configINS0_14default_configEtN2at4cuda3cub6detail10OpaqueTypeILi8EEEEEPtSC_PSA_SD_jNS1_19radix_merge_compareILb0ELb1EtNS0_19identity_decomposerEEEEEvT0_T1_T2_T3_T4_SL_T5_.uses_flat_scratch, 0
	.set _ZN7rocprim17ROCPRIM_304000_NS6detail33device_block_merge_oddeven_kernelINS1_37wrapped_merge_sort_block_merge_configINS0_14default_configEtN2at4cuda3cub6detail10OpaqueTypeILi8EEEEEPtSC_PSA_SD_jNS1_19radix_merge_compareILb0ELb1EtNS0_19identity_decomposerEEEEEvT0_T1_T2_T3_T4_SL_T5_.has_dyn_sized_stack, 0
	.set _ZN7rocprim17ROCPRIM_304000_NS6detail33device_block_merge_oddeven_kernelINS1_37wrapped_merge_sort_block_merge_configINS0_14default_configEtN2at4cuda3cub6detail10OpaqueTypeILi8EEEEEPtSC_PSA_SD_jNS1_19radix_merge_compareILb0ELb1EtNS0_19identity_decomposerEEEEEvT0_T1_T2_T3_T4_SL_T5_.has_recursion, 0
	.set _ZN7rocprim17ROCPRIM_304000_NS6detail33device_block_merge_oddeven_kernelINS1_37wrapped_merge_sort_block_merge_configINS0_14default_configEtN2at4cuda3cub6detail10OpaqueTypeILi8EEEEEPtSC_PSA_SD_jNS1_19radix_merge_compareILb0ELb1EtNS0_19identity_decomposerEEEEEvT0_T1_T2_T3_T4_SL_T5_.has_indirect_call, 0
	.section	.AMDGPU.csdata,"",@progbits
; Kernel info:
; codeLenInByte = 740
; TotalNumSgprs: 30
; NumVgprs: 11
; NumAgprs: 0
; TotalNumVgprs: 11
; ScratchSize: 0
; MemoryBound: 0
; FloatMode: 240
; IeeeMode: 1
; LDSByteSize: 0 bytes/workgroup (compile time only)
; SGPRBlocks: 3
; VGPRBlocks: 1
; NumSGPRsForWavesPerEU: 30
; NumVGPRsForWavesPerEU: 11
; AccumOffset: 12
; Occupancy: 8
; WaveLimiterHint : 0
; COMPUTE_PGM_RSRC2:SCRATCH_EN: 0
; COMPUTE_PGM_RSRC2:USER_SGPR: 2
; COMPUTE_PGM_RSRC2:TRAP_HANDLER: 0
; COMPUTE_PGM_RSRC2:TGID_X_EN: 1
; COMPUTE_PGM_RSRC2:TGID_Y_EN: 0
; COMPUTE_PGM_RSRC2:TGID_Z_EN: 0
; COMPUTE_PGM_RSRC2:TIDIG_COMP_CNT: 0
; COMPUTE_PGM_RSRC3_GFX90A:ACCUM_OFFSET: 2
; COMPUTE_PGM_RSRC3_GFX90A:TG_SPLIT: 0
	.section	.text._ZN7rocprim17ROCPRIM_304000_NS6detail26onesweep_histograms_kernelINS1_34wrapped_radix_sort_onesweep_configINS0_14default_configEtN2at4cuda3cub6detail10OpaqueTypeILi8EEEEELb0EPKtmNS0_19identity_decomposerEEEvT1_PT2_SG_SG_T3_jj,"axG",@progbits,_ZN7rocprim17ROCPRIM_304000_NS6detail26onesweep_histograms_kernelINS1_34wrapped_radix_sort_onesweep_configINS0_14default_configEtN2at4cuda3cub6detail10OpaqueTypeILi8EEEEELb0EPKtmNS0_19identity_decomposerEEEvT1_PT2_SG_SG_T3_jj,comdat
	.protected	_ZN7rocprim17ROCPRIM_304000_NS6detail26onesweep_histograms_kernelINS1_34wrapped_radix_sort_onesweep_configINS0_14default_configEtN2at4cuda3cub6detail10OpaqueTypeILi8EEEEELb0EPKtmNS0_19identity_decomposerEEEvT1_PT2_SG_SG_T3_jj ; -- Begin function _ZN7rocprim17ROCPRIM_304000_NS6detail26onesweep_histograms_kernelINS1_34wrapped_radix_sort_onesweep_configINS0_14default_configEtN2at4cuda3cub6detail10OpaqueTypeILi8EEEEELb0EPKtmNS0_19identity_decomposerEEEvT1_PT2_SG_SG_T3_jj
	.globl	_ZN7rocprim17ROCPRIM_304000_NS6detail26onesweep_histograms_kernelINS1_34wrapped_radix_sort_onesweep_configINS0_14default_configEtN2at4cuda3cub6detail10OpaqueTypeILi8EEEEELb0EPKtmNS0_19identity_decomposerEEEvT1_PT2_SG_SG_T3_jj
	.p2align	8
	.type	_ZN7rocprim17ROCPRIM_304000_NS6detail26onesweep_histograms_kernelINS1_34wrapped_radix_sort_onesweep_configINS0_14default_configEtN2at4cuda3cub6detail10OpaqueTypeILi8EEEEELb0EPKtmNS0_19identity_decomposerEEEvT1_PT2_SG_SG_T3_jj,@function
_ZN7rocprim17ROCPRIM_304000_NS6detail26onesweep_histograms_kernelINS1_34wrapped_radix_sort_onesweep_configINS0_14default_configEtN2at4cuda3cub6detail10OpaqueTypeILi8EEEEELb0EPKtmNS0_19identity_decomposerEEEvT1_PT2_SG_SG_T3_jj: ; @_ZN7rocprim17ROCPRIM_304000_NS6detail26onesweep_histograms_kernelINS1_34wrapped_radix_sort_onesweep_configINS0_14default_configEtN2at4cuda3cub6detail10OpaqueTypeILi8EEEEELb0EPKtmNS0_19identity_decomposerEEEvT1_PT2_SG_SG_T3_jj
; %bb.0:
	s_load_dwordx8 s[36:43], s[0:1], 0x0
	s_load_dwordx2 s[44:45], s[0:1], 0x24
	v_mov_b32_e32 v2, s2
	v_mov_b32_e32 v3, 0
	s_mul_hi_u32 s0, s2, 0x2400
	s_mulk_i32 s2, 0x2400
	s_waitcnt lgkmcnt(0)
	v_cmp_le_u64_e32 vcc, s[42:43], v[2:3]
	s_add_u32 s46, s36, s2
	s_addc_u32 s47, s37, s0
	s_mov_b64 s[0:1], -1
	v_lshlrev_b32_e32 v2, 1, v0
	s_cbranch_vccz .LBB23_122
; %bb.1:
	s_mul_i32 s33, s42, 0xffffee00
	s_add_i32 s33, s33, s40
	v_lshl_add_u64 v[4:5], s[46:47], 0, v[2:3]
	v_cmp_gt_u32_e64 s[36:37], s33, v0
	v_mov_b32_e32 v21, 0
	s_and_saveexec_b64 s[0:1], s[36:37]
	s_cbranch_execz .LBB23_3
; %bb.2:
	global_load_ushort v21, v[4:5], off
.LBB23_3:
	s_or_b64 exec, exec, s[0:1]
	v_or_b32_e32 v1, 0x100, v0
	v_cmp_gt_u32_e64 s[34:35], s33, v1
	s_and_saveexec_b64 s[0:1], s[34:35]
	s_cbranch_execz .LBB23_5
; %bb.4:
	global_load_ushort v3, v[4:5], off offset:512
.LBB23_5:
	s_or_b64 exec, exec, s[0:1]
	v_or_b32_e32 v1, 0x200, v0
	v_cmp_gt_u32_e64 s[30:31], s33, v1
	v_mov_b32_e32 v19, 0
	v_mov_b32_e32 v20, 0
	s_and_saveexec_b64 s[0:1], s[30:31]
	s_cbranch_execz .LBB23_7
; %bb.6:
	global_load_ushort v20, v[4:5], off offset:1024
.LBB23_7:
	s_or_b64 exec, exec, s[0:1]
	v_or_b32_e32 v1, 0x300, v0
	v_cmp_gt_u32_e64 s[28:29], s33, v1
	s_and_saveexec_b64 s[0:1], s[28:29]
	s_cbranch_execz .LBB23_9
; %bb.8:
	global_load_ushort v19, v[4:5], off offset:1536
.LBB23_9:
	s_or_b64 exec, exec, s[0:1]
	v_or_b32_e32 v1, 0x400, v0
	v_cmp_gt_u32_e64 s[26:27], s33, v1
	v_mov_b32_e32 v17, 0
	v_mov_b32_e32 v18, 0
	s_and_saveexec_b64 s[0:1], s[26:27]
	s_cbranch_execz .LBB23_11
; %bb.10:
	global_load_ushort v18, v[4:5], off offset:2048
.LBB23_11:
	;; [unrolled: 18-line block ×3, first 2 shown]
	s_or_b64 exec, exec, s[0:1]
	v_or_b32_e32 v1, 0x700, v0
	v_cmp_gt_u32_e64 s[20:21], s33, v1
	s_and_saveexec_b64 s[0:1], s[20:21]
	s_cbranch_execz .LBB23_17
; %bb.16:
	global_load_ushort v14, v[4:5], off offset:3584
.LBB23_17:
	s_or_b64 exec, exec, s[0:1]
	v_or_b32_e32 v1, 0x800, v0
	v_cmp_gt_u32_e64 s[18:19], s33, v1
	v_mov_b32_e32 v12, 0
	v_mov_b32_e32 v15, 0
	s_and_saveexec_b64 s[0:1], s[18:19]
	s_cbranch_execz .LBB23_19
; %bb.18:
	v_add_co_u32_e32 v6, vcc, 0x1000, v4
	s_nop 1
	v_addc_co_u32_e32 v7, vcc, 0, v5, vcc
	global_load_ushort v15, v[6:7], off
.LBB23_19:
	s_or_b64 exec, exec, s[0:1]
	v_or_b32_e32 v1, 0x900, v0
	v_cmp_gt_u32_e64 s[16:17], s33, v1
	s_and_saveexec_b64 s[0:1], s[16:17]
	s_cbranch_execz .LBB23_21
; %bb.20:
	v_add_co_u32_e32 v6, vcc, 0x1000, v4
	s_nop 1
	v_addc_co_u32_e32 v7, vcc, 0, v5, vcc
	global_load_ushort v12, v[6:7], off offset:512
.LBB23_21:
	s_or_b64 exec, exec, s[0:1]
	v_or_b32_e32 v1, 0xa00, v0
	v_cmp_gt_u32_e64 s[14:15], s33, v1
	v_mov_b32_e32 v10, 0
	v_mov_b32_e32 v13, 0
	s_and_saveexec_b64 s[0:1], s[14:15]
	s_cbranch_execz .LBB23_23
; %bb.22:
	v_add_co_u32_e32 v6, vcc, 0x1000, v4
	s_nop 1
	v_addc_co_u32_e32 v7, vcc, 0, v5, vcc
	global_load_ushort v13, v[6:7], off offset:1024
.LBB23_23:
	s_or_b64 exec, exec, s[0:1]
	v_or_b32_e32 v1, 0xb00, v0
	v_cmp_gt_u32_e64 s[12:13], s33, v1
	s_and_saveexec_b64 s[0:1], s[12:13]
	s_cbranch_execz .LBB23_25
; %bb.24:
	v_add_co_u32_e32 v6, vcc, 0x1000, v4
	s_nop 1
	v_addc_co_u32_e32 v7, vcc, 0, v5, vcc
	global_load_ushort v10, v[6:7], off offset:1536
.LBB23_25:
	s_or_b64 exec, exec, s[0:1]
	v_or_b32_e32 v1, 0xc00, v0
	v_cmp_gt_u32_e64 s[10:11], s33, v1
	v_mov_b32_e32 v8, 0
	v_mov_b32_e32 v11, 0
	s_and_saveexec_b64 s[0:1], s[10:11]
	s_cbranch_execz .LBB23_27
; %bb.26:
	v_add_co_u32_e32 v6, vcc, 0x1000, v4
	s_nop 1
	v_addc_co_u32_e32 v7, vcc, 0, v5, vcc
	global_load_ushort v11, v[6:7], off offset:2048
.LBB23_27:
	;; [unrolled: 24-line block ×3, first 2 shown]
	s_or_b64 exec, exec, s[0:1]
	v_or_b32_e32 v1, 0xf00, v0
	v_cmp_gt_u32_e64 s[4:5], s33, v1
	s_and_saveexec_b64 s[0:1], s[4:5]
	s_cbranch_execz .LBB23_33
; %bb.32:
	v_add_co_u32_e32 v6, vcc, 0x1000, v4
	s_nop 1
	v_addc_co_u32_e32 v7, vcc, 0, v5, vcc
	global_load_ushort v6, v[6:7], off offset:3584
.LBB23_33:
	s_or_b64 exec, exec, s[0:1]
	v_or_b32_e32 v1, 0x1000, v0
	v_cmp_gt_u32_e64 s[2:3], s33, v1
	v_mov_b32_e32 v1, 0
	v_mov_b32_e32 v7, 0
	s_and_saveexec_b64 s[0:1], s[2:3]
	s_cbranch_execz .LBB23_35
; %bb.34:
	v_add_co_u32_e32 v22, vcc, 0x2000, v4
	s_nop 1
	v_addc_co_u32_e32 v23, vcc, 0, v5, vcc
	global_load_ushort v7, v[22:23], off
.LBB23_35:
	s_or_b64 exec, exec, s[0:1]
	v_or_b32_e32 v22, 0x1100, v0
	v_cmp_gt_u32_e64 s[0:1], s33, v22
	s_and_saveexec_b64 s[40:41], s[0:1]
	s_cbranch_execz .LBB23_37
; %bb.36:
	v_add_co_u32_e32 v4, vcc, 0x2000, v4
	s_nop 1
	v_addc_co_u32_e32 v5, vcc, 0, v5, vcc
	global_load_ushort v1, v[4:5], off offset:512
.LBB23_37:
	s_or_b64 exec, exec, s[40:41]
	s_mov_b32 s40, 0
	v_lshlrev_b32_e32 v4, 2, v0
	s_mov_b32 s41, 1
	s_mov_b64 s[42:43], 0
	v_mov_b32_e32 v5, 0
	s_mov_b32 s48, s40
	s_branch .LBB23_39
.LBB23_38:                              ;   in Loop: Header=BB23_39 Depth=1
	s_or_b64 exec, exec, s[52:53]
	s_add_i32 s48, s48, 2
	v_cmp_eq_u32_e64 s[50:51], 8, s48
	s_or_b64 s[42:43], s[50:51], s[42:43]
	v_add_u32_e32 v4, 0x800, v4
	s_andn2_b64 exec, exec, s[42:43]
	s_cbranch_execz .LBB23_43
.LBB23_39:                              ; =>This Inner Loop Header: Depth=1
	s_mov_b32 s49, s48
	s_or_b64 s[52:53], s[48:49], s[40:41]
	v_cmp_le_u32_e64 s[50:51], s53, 7
	v_cmp_le_u32_e64 s[54:55], s52, 7
	s_and_saveexec_b64 s[52:53], s[54:55]
; %bb.40:                               ;   in Loop: Header=BB23_39 Depth=1
	ds_write_b32 v4, v5
; %bb.41:                               ;   in Loop: Header=BB23_39 Depth=1
	s_or_b64 exec, exec, s[52:53]
	s_and_saveexec_b64 s[52:53], s[50:51]
	s_cbranch_execz .LBB23_38
; %bb.42:                               ;   in Loop: Header=BB23_39 Depth=1
	ds_write_b32 v4, v5 offset:1024
	s_branch .LBB23_38
.LBB23_43:
	s_or_b64 exec, exec, s[42:43]
	s_cmp_gt_u32 s45, s44
	s_cselect_b64 s[40:41], -1, 0
	s_cmp_le_u32 s45, s44
	s_waitcnt lgkmcnt(0)
	s_barrier
	s_cbranch_scc1 .LBB23_116
; %bb.44:
	v_and_b32_e32 v4, 3, v0
	v_lshlrev_b32_e32 v4, 2, v4
	s_sub_i32 s33, s45, s44
	v_mov_b32_e32 v5, 1
	s_mov_b32 s48, s33
	v_mov_b32_e32 v22, v4
	s_mov_b32 s49, s44
	s_branch .LBB23_46
.LBB23_45:                              ;   in Loop: Header=BB23_46 Depth=1
	s_or_b64 exec, exec, s[42:43]
	s_add_i32 s49, s49, 8
	s_add_i32 s48, s48, -8
	s_cmp_lt_u32 s49, s45
	v_add_u32_e32 v22, 0x1000, v22
	s_cbranch_scc0 .LBB23_48
.LBB23_46:                              ; =>This Inner Loop Header: Depth=1
	s_and_saveexec_b64 s[42:43], s[36:37]
	s_cbranch_execz .LBB23_45
; %bb.47:                               ;   in Loop: Header=BB23_46 Depth=1
	s_min_u32 s50, s48, 8
	s_waitcnt vmcnt(0)
	v_lshrrev_b32_e32 v23, s49, v21
	v_bfe_u32 v23, v23, 0, s50
	v_lshl_add_u32 v23, v23, 4, v22
	ds_add_u32 v23, v5
	s_branch .LBB23_45
.LBB23_48:
	v_mov_b32_e32 v5, 1
	s_mov_b32 s42, s33
	s_waitcnt vmcnt(0)
	v_mov_b32_e32 v21, v4
	s_mov_b32 s43, s44
	s_branch .LBB23_50
.LBB23_49:                              ;   in Loop: Header=BB23_50 Depth=1
	s_or_b64 exec, exec, s[36:37]
	s_add_i32 s43, s43, 8
	s_add_i32 s42, s42, -8
	s_cmp_lt_u32 s43, s45
	v_add_u32_e32 v21, 0x1000, v21
	s_cbranch_scc0 .LBB23_52
.LBB23_50:                              ; =>This Inner Loop Header: Depth=1
	s_and_saveexec_b64 s[36:37], s[34:35]
	s_cbranch_execz .LBB23_49
; %bb.51:                               ;   in Loop: Header=BB23_50 Depth=1
	s_min_u32 s48, s42, 8
	v_lshrrev_b32_e32 v22, s43, v3
	v_bfe_u32 v22, v22, 0, s48
	v_lshl_add_u32 v22, v22, 4, v21
	ds_add_u32 v22, v5
	s_branch .LBB23_49
.LBB23_52:
	v_mov_b32_e32 v3, 1
	s_mov_b32 s36, s33
	v_mov_b32_e32 v5, v4
	s_mov_b32 s37, s44
	s_branch .LBB23_54
.LBB23_53:                              ;   in Loop: Header=BB23_54 Depth=1
	s_or_b64 exec, exec, s[34:35]
	s_add_i32 s37, s37, 8
	s_add_i32 s36, s36, -8
	s_cmp_lt_u32 s37, s45
	v_add_u32_e32 v5, 0x1000, v5
	s_cbranch_scc0 .LBB23_56
.LBB23_54:                              ; =>This Inner Loop Header: Depth=1
	s_and_saveexec_b64 s[34:35], s[30:31]
	s_cbranch_execz .LBB23_53
; %bb.55:                               ;   in Loop: Header=BB23_54 Depth=1
	s_min_u32 s42, s36, 8
	v_lshrrev_b32_e32 v21, s37, v20
	v_bfe_u32 v21, v21, 0, s42
	v_lshl_add_u32 v21, v21, 4, v5
	ds_add_u32 v21, v3
	s_branch .LBB23_53
.LBB23_56:
	v_mov_b32_e32 v3, 1
	s_mov_b32 s34, s33
	v_mov_b32_e32 v5, v4
	s_mov_b32 s35, s44
	s_branch .LBB23_58
.LBB23_57:                              ;   in Loop: Header=BB23_58 Depth=1
	s_or_b64 exec, exec, s[30:31]
	s_add_i32 s35, s35, 8
	s_add_i32 s34, s34, -8
	s_cmp_lt_u32 s35, s45
	v_add_u32_e32 v5, 0x1000, v5
	s_cbranch_scc0 .LBB23_60
.LBB23_58:                              ; =>This Inner Loop Header: Depth=1
	s_and_saveexec_b64 s[30:31], s[28:29]
	s_cbranch_execz .LBB23_57
; %bb.59:                               ;   in Loop: Header=BB23_58 Depth=1
	s_min_u32 s36, s34, 8
	v_lshrrev_b32_e32 v20, s35, v19
	v_bfe_u32 v20, v20, 0, s36
	v_lshl_add_u32 v20, v20, 4, v5
	ds_add_u32 v20, v3
	s_branch .LBB23_57
.LBB23_60:
	v_mov_b32_e32 v3, 1
	s_mov_b32 s30, s33
	v_mov_b32_e32 v5, v4
	s_mov_b32 s31, s44
	s_branch .LBB23_62
.LBB23_61:                              ;   in Loop: Header=BB23_62 Depth=1
	s_or_b64 exec, exec, s[28:29]
	s_add_i32 s31, s31, 8
	s_add_i32 s30, s30, -8
	s_cmp_lt_u32 s31, s45
	v_add_u32_e32 v5, 0x1000, v5
	s_cbranch_scc0 .LBB23_64
.LBB23_62:                              ; =>This Inner Loop Header: Depth=1
	s_and_saveexec_b64 s[28:29], s[26:27]
	s_cbranch_execz .LBB23_61
; %bb.63:                               ;   in Loop: Header=BB23_62 Depth=1
	s_min_u32 s34, s30, 8
	v_lshrrev_b32_e32 v19, s31, v18
	v_bfe_u32 v19, v19, 0, s34
	v_lshl_add_u32 v19, v19, 4, v5
	ds_add_u32 v19, v3
	s_branch .LBB23_61
.LBB23_64:
	v_mov_b32_e32 v3, 1
	s_mov_b32 s28, s33
	v_mov_b32_e32 v5, v4
	s_mov_b32 s29, s44
	s_branch .LBB23_66
.LBB23_65:                              ;   in Loop: Header=BB23_66 Depth=1
	s_or_b64 exec, exec, s[26:27]
	s_add_i32 s29, s29, 8
	s_add_i32 s28, s28, -8
	s_cmp_lt_u32 s29, s45
	v_add_u32_e32 v5, 0x1000, v5
	s_cbranch_scc0 .LBB23_68
.LBB23_66:                              ; =>This Inner Loop Header: Depth=1
	s_and_saveexec_b64 s[26:27], s[24:25]
	s_cbranch_execz .LBB23_65
; %bb.67:                               ;   in Loop: Header=BB23_66 Depth=1
	s_min_u32 s30, s28, 8
	v_lshrrev_b32_e32 v18, s29, v17
	v_bfe_u32 v18, v18, 0, s30
	v_lshl_add_u32 v18, v18, 4, v5
	ds_add_u32 v18, v3
	s_branch .LBB23_65
.LBB23_68:
	v_mov_b32_e32 v3, 1
	s_mov_b32 s26, s33
	v_mov_b32_e32 v5, v4
	s_mov_b32 s27, s44
	s_branch .LBB23_70
.LBB23_69:                              ;   in Loop: Header=BB23_70 Depth=1
	s_or_b64 exec, exec, s[24:25]
	s_add_i32 s27, s27, 8
	s_add_i32 s26, s26, -8
	s_cmp_lt_u32 s27, s45
	v_add_u32_e32 v5, 0x1000, v5
	s_cbranch_scc0 .LBB23_72
.LBB23_70:                              ; =>This Inner Loop Header: Depth=1
	s_and_saveexec_b64 s[24:25], s[22:23]
	s_cbranch_execz .LBB23_69
; %bb.71:                               ;   in Loop: Header=BB23_70 Depth=1
	s_min_u32 s28, s26, 8
	v_lshrrev_b32_e32 v17, s27, v16
	v_bfe_u32 v17, v17, 0, s28
	v_lshl_add_u32 v17, v17, 4, v5
	ds_add_u32 v17, v3
	s_branch .LBB23_69
.LBB23_72:
	v_mov_b32_e32 v3, 1
	s_mov_b32 s24, s33
	v_mov_b32_e32 v5, v4
	s_mov_b32 s25, s44
	s_branch .LBB23_74
.LBB23_73:                              ;   in Loop: Header=BB23_74 Depth=1
	s_or_b64 exec, exec, s[22:23]
	s_add_i32 s25, s25, 8
	s_add_i32 s24, s24, -8
	s_cmp_lt_u32 s25, s45
	v_add_u32_e32 v5, 0x1000, v5
	s_cbranch_scc0 .LBB23_76
.LBB23_74:                              ; =>This Inner Loop Header: Depth=1
	s_and_saveexec_b64 s[22:23], s[20:21]
	s_cbranch_execz .LBB23_73
; %bb.75:                               ;   in Loop: Header=BB23_74 Depth=1
	s_min_u32 s26, s24, 8
	v_lshrrev_b32_e32 v16, s25, v14
	v_bfe_u32 v16, v16, 0, s26
	v_lshl_add_u32 v16, v16, 4, v5
	ds_add_u32 v16, v3
	s_branch .LBB23_73
.LBB23_76:
	v_mov_b32_e32 v3, 1
	s_mov_b32 s22, s33
	v_mov_b32_e32 v5, v4
	s_mov_b32 s23, s44
	s_branch .LBB23_78
.LBB23_77:                              ;   in Loop: Header=BB23_78 Depth=1
	s_or_b64 exec, exec, s[20:21]
	s_add_i32 s23, s23, 8
	s_add_i32 s22, s22, -8
	s_cmp_lt_u32 s23, s45
	v_add_u32_e32 v5, 0x1000, v5
	s_cbranch_scc0 .LBB23_80
.LBB23_78:                              ; =>This Inner Loop Header: Depth=1
	s_and_saveexec_b64 s[20:21], s[18:19]
	s_cbranch_execz .LBB23_77
; %bb.79:                               ;   in Loop: Header=BB23_78 Depth=1
	s_min_u32 s24, s22, 8
	v_lshrrev_b32_e32 v14, s23, v15
	v_bfe_u32 v14, v14, 0, s24
	v_lshl_add_u32 v14, v14, 4, v5
	ds_add_u32 v14, v3
	s_branch .LBB23_77
.LBB23_80:
	v_mov_b32_e32 v3, 1
	s_mov_b32 s20, s33
	v_mov_b32_e32 v5, v4
	s_mov_b32 s21, s44
	s_branch .LBB23_82
.LBB23_81:                              ;   in Loop: Header=BB23_82 Depth=1
	s_or_b64 exec, exec, s[18:19]
	s_add_i32 s21, s21, 8
	s_add_i32 s20, s20, -8
	s_cmp_lt_u32 s21, s45
	v_add_u32_e32 v5, 0x1000, v5
	s_cbranch_scc0 .LBB23_84
.LBB23_82:                              ; =>This Inner Loop Header: Depth=1
	s_and_saveexec_b64 s[18:19], s[16:17]
	s_cbranch_execz .LBB23_81
; %bb.83:                               ;   in Loop: Header=BB23_82 Depth=1
	s_min_u32 s22, s20, 8
	v_lshrrev_b32_e32 v14, s21, v12
	v_bfe_u32 v14, v14, 0, s22
	v_lshl_add_u32 v14, v14, 4, v5
	ds_add_u32 v14, v3
	s_branch .LBB23_81
.LBB23_84:
	v_mov_b32_e32 v3, 1
	s_mov_b32 s18, s33
	v_mov_b32_e32 v5, v4
	s_mov_b32 s19, s44
	s_branch .LBB23_86
.LBB23_85:                              ;   in Loop: Header=BB23_86 Depth=1
	s_or_b64 exec, exec, s[16:17]
	s_add_i32 s19, s19, 8
	s_add_i32 s18, s18, -8
	s_cmp_lt_u32 s19, s45
	v_add_u32_e32 v5, 0x1000, v5
	s_cbranch_scc0 .LBB23_88
.LBB23_86:                              ; =>This Inner Loop Header: Depth=1
	s_and_saveexec_b64 s[16:17], s[14:15]
	s_cbranch_execz .LBB23_85
; %bb.87:                               ;   in Loop: Header=BB23_86 Depth=1
	s_min_u32 s20, s18, 8
	v_lshrrev_b32_e32 v12, s19, v13
	v_bfe_u32 v12, v12, 0, s20
	v_lshl_add_u32 v12, v12, 4, v5
	ds_add_u32 v12, v3
	s_branch .LBB23_85
.LBB23_88:
	v_mov_b32_e32 v3, 1
	s_mov_b32 s16, s33
	v_mov_b32_e32 v5, v4
	s_mov_b32 s17, s44
	s_branch .LBB23_90
.LBB23_89:                              ;   in Loop: Header=BB23_90 Depth=1
	s_or_b64 exec, exec, s[14:15]
	s_add_i32 s17, s17, 8
	s_add_i32 s16, s16, -8
	s_cmp_lt_u32 s17, s45
	v_add_u32_e32 v5, 0x1000, v5
	s_cbranch_scc0 .LBB23_92
.LBB23_90:                              ; =>This Inner Loop Header: Depth=1
	s_and_saveexec_b64 s[14:15], s[12:13]
	s_cbranch_execz .LBB23_89
; %bb.91:                               ;   in Loop: Header=BB23_90 Depth=1
	s_min_u32 s18, s16, 8
	v_lshrrev_b32_e32 v12, s17, v10
	v_bfe_u32 v12, v12, 0, s18
	v_lshl_add_u32 v12, v12, 4, v5
	ds_add_u32 v12, v3
	s_branch .LBB23_89
.LBB23_92:
	v_mov_b32_e32 v3, 1
	s_mov_b32 s14, s33
	v_mov_b32_e32 v5, v4
	s_mov_b32 s15, s44
	s_branch .LBB23_94
.LBB23_93:                              ;   in Loop: Header=BB23_94 Depth=1
	s_or_b64 exec, exec, s[12:13]
	s_add_i32 s15, s15, 8
	s_add_i32 s14, s14, -8
	s_cmp_lt_u32 s15, s45
	v_add_u32_e32 v5, 0x1000, v5
	s_cbranch_scc0 .LBB23_96
.LBB23_94:                              ; =>This Inner Loop Header: Depth=1
	s_and_saveexec_b64 s[12:13], s[10:11]
	s_cbranch_execz .LBB23_93
; %bb.95:                               ;   in Loop: Header=BB23_94 Depth=1
	s_min_u32 s16, s14, 8
	v_lshrrev_b32_e32 v10, s15, v11
	v_bfe_u32 v10, v10, 0, s16
	v_lshl_add_u32 v10, v10, 4, v5
	ds_add_u32 v10, v3
	s_branch .LBB23_93
.LBB23_96:
	v_mov_b32_e32 v3, 1
	s_mov_b32 s12, s33
	v_mov_b32_e32 v5, v4
	s_mov_b32 s13, s44
	s_branch .LBB23_98
.LBB23_97:                              ;   in Loop: Header=BB23_98 Depth=1
	s_or_b64 exec, exec, s[10:11]
	s_add_i32 s13, s13, 8
	s_add_i32 s12, s12, -8
	s_cmp_lt_u32 s13, s45
	v_add_u32_e32 v5, 0x1000, v5
	s_cbranch_scc0 .LBB23_100
.LBB23_98:                              ; =>This Inner Loop Header: Depth=1
	s_and_saveexec_b64 s[10:11], s[8:9]
	s_cbranch_execz .LBB23_97
; %bb.99:                               ;   in Loop: Header=BB23_98 Depth=1
	s_min_u32 s14, s12, 8
	v_lshrrev_b32_e32 v10, s13, v8
	v_bfe_u32 v10, v10, 0, s14
	v_lshl_add_u32 v10, v10, 4, v5
	ds_add_u32 v10, v3
	s_branch .LBB23_97
.LBB23_100:
	v_mov_b32_e32 v3, 1
	s_mov_b32 s10, s33
	v_mov_b32_e32 v5, v4
	s_mov_b32 s11, s44
	s_branch .LBB23_102
.LBB23_101:                             ;   in Loop: Header=BB23_102 Depth=1
	s_or_b64 exec, exec, s[8:9]
	s_add_i32 s11, s11, 8
	s_add_i32 s10, s10, -8
	s_cmp_lt_u32 s11, s45
	v_add_u32_e32 v5, 0x1000, v5
	s_cbranch_scc0 .LBB23_104
.LBB23_102:                             ; =>This Inner Loop Header: Depth=1
	s_and_saveexec_b64 s[8:9], s[6:7]
	s_cbranch_execz .LBB23_101
; %bb.103:                              ;   in Loop: Header=BB23_102 Depth=1
	s_min_u32 s12, s10, 8
	v_lshrrev_b32_e32 v8, s11, v9
	v_bfe_u32 v8, v8, 0, s12
	v_lshl_add_u32 v8, v8, 4, v5
	ds_add_u32 v8, v3
	s_branch .LBB23_101
.LBB23_104:
	v_mov_b32_e32 v3, 1
	s_mov_b32 s8, s33
	v_mov_b32_e32 v5, v4
	s_mov_b32 s9, s44
	s_branch .LBB23_106
.LBB23_105:                             ;   in Loop: Header=BB23_106 Depth=1
	s_or_b64 exec, exec, s[6:7]
	s_add_i32 s9, s9, 8
	s_add_i32 s8, s8, -8
	s_cmp_lt_u32 s9, s45
	v_add_u32_e32 v5, 0x1000, v5
	s_cbranch_scc0 .LBB23_108
.LBB23_106:                             ; =>This Inner Loop Header: Depth=1
	s_and_saveexec_b64 s[6:7], s[4:5]
	s_cbranch_execz .LBB23_105
; %bb.107:                              ;   in Loop: Header=BB23_106 Depth=1
	s_min_u32 s10, s8, 8
	v_lshrrev_b32_e32 v8, s9, v6
	v_bfe_u32 v8, v8, 0, s10
	v_lshl_add_u32 v8, v8, 4, v5
	ds_add_u32 v8, v3
	s_branch .LBB23_105
.LBB23_108:
	v_mov_b32_e32 v3, 1
	s_mov_b32 s6, s33
	;; [unrolled: 23-line block ×3, first 2 shown]
	s_branch .LBB23_114
.LBB23_113:                             ;   in Loop: Header=BB23_114 Depth=1
	s_or_b64 exec, exec, s[2:3]
	s_add_i32 s4, s4, 8
	s_add_i32 s33, s33, -8
	s_cmp_lt_u32 s4, s45
	v_add_u32_e32 v4, 0x1000, v4
	s_cbranch_scc0 .LBB23_116
.LBB23_114:                             ; =>This Inner Loop Header: Depth=1
	s_and_saveexec_b64 s[2:3], s[0:1]
	s_cbranch_execz .LBB23_113
; %bb.115:                              ;   in Loop: Header=BB23_114 Depth=1
	s_min_u32 s5, s33, 8
	v_lshrrev_b32_e32 v5, s4, v1
	v_bfe_u32 v5, v5, 0, s5
	v_lshl_add_u32 v5, v5, 4, v4
	ds_add_u32 v5, v3
	s_branch .LBB23_113
.LBB23_116:
	s_and_b64 vcc, exec, s[40:41]
	s_waitcnt lgkmcnt(0)
	s_barrier
	s_cbranch_vccz .LBB23_121
; %bb.117:
	s_movk_i32 s0, 0x100
	v_cmp_gt_u32_e32 vcc, s0, v0
	s_waitcnt vmcnt(0)
	v_lshlrev_b32_e32 v1, 4, v0
	v_mov_b32_e32 v5, 0
	v_mov_b32_e32 v4, v0
	s_mov_b32 s2, s44
	s_branch .LBB23_119
.LBB23_118:                             ;   in Loop: Header=BB23_119 Depth=1
	s_or_b64 exec, exec, s[0:1]
	s_add_i32 s2, s2, 8
	v_add_u32_e32 v4, 0x100, v4
	s_cmp_lt_u32 s2, s45
	v_add_u32_e32 v1, 0x1000, v1
	s_cbranch_scc0 .LBB23_121
.LBB23_119:                             ; =>This Inner Loop Header: Depth=1
	s_and_saveexec_b64 s[0:1], vcc
	s_cbranch_execz .LBB23_118
; %bb.120:                              ;   in Loop: Header=BB23_119 Depth=1
	ds_read2_b32 v[6:7], v1 offset1:1
	ds_read2_b32 v[8:9], v1 offset0:2 offset1:3
	v_lshl_add_u64 v[10:11], v[4:5], 3, s[38:39]
	s_waitcnt lgkmcnt(1)
	v_add_u32_e32 v3, v7, v6
	s_waitcnt lgkmcnt(0)
	v_add3_u32 v6, v3, v8, v9
	v_mov_b32_e32 v7, v5
	global_atomic_add_x2 v[10:11], v[6:7], off
	s_branch .LBB23_118
.LBB23_121:
	s_mov_b64 s[0:1], 0
.LBB23_122:
	s_and_b64 vcc, exec, s[0:1]
	s_cbranch_vccz .LBB23_182
; %bb.123:
	s_waitcnt vmcnt(0)
	v_mov_b32_e32 v3, 0
	v_lshl_add_u64 v[22:23], s[46:47], 0, v[2:3]
	s_movk_i32 s0, 0x1000
	v_add_co_u32_e32 v24, vcc, s0, v22
	global_load_ushort v20, v2, s[46:47]
	global_load_ushort v19, v2, s[46:47] offset:512
	global_load_ushort v18, v2, s[46:47] offset:1024
	;; [unrolled: 1-line block ×7, first 2 shown]
	v_addc_co_u32_e32 v25, vcc, 0, v23, vcc
	global_load_ushort v13, v[24:25], off
	global_load_ushort v11, v[24:25], off offset:512
	global_load_ushort v10, v[24:25], off offset:1024
	;; [unrolled: 1-line block ×7, first 2 shown]
	v_add_co_u32_e32 v22, vcc, 0x2000, v22
	s_cmp_eq_u32 s44, 0
	s_nop 0
	v_addc_co_u32_e32 v23, vcc, 0, v23, vcc
	global_load_ushort v5, v[22:23], off
	global_load_ushort v1, v[22:23], off offset:512
	s_cselect_b64 s[2:3], -1, 0
	s_cmp_eq_u32 s45, 16
	s_cselect_b64 s[4:5], -1, 0
	s_mov_b32 s0, 0
	s_and_b64 s[4:5], s[2:3], s[4:5]
	s_mov_b32 s1, 1
	s_mov_b64 s[2:3], -1
	s_and_b64 vcc, exec, s[4:5]
	v_lshlrev_b32_e32 v21, 2, v0
	s_cbranch_vccnz .LBB23_173
; %bb.124:
	v_lshlrev_b32_e32 v2, 2, v0
	s_mov_b64 s[2:3], 0
	s_mov_b32 s4, s0
	s_branch .LBB23_126
.LBB23_125:                             ;   in Loop: Header=BB23_126 Depth=1
	s_or_b64 exec, exec, s[8:9]
	s_add_i32 s4, s4, 2
	v_cmp_eq_u32_e64 s[6:7], 8, s4
	s_or_b64 s[2:3], s[6:7], s[2:3]
	v_add_u32_e32 v2, 0x800, v2
	s_andn2_b64 exec, exec, s[2:3]
	s_cbranch_execz .LBB23_130
.LBB23_126:                             ; =>This Inner Loop Header: Depth=1
	s_mov_b32 s5, s4
	s_or_b64 s[8:9], s[4:5], s[0:1]
	v_cmp_le_u32_e64 s[6:7], s9, 7
	v_cmp_le_u32_e64 s[10:11], s8, 7
	s_and_saveexec_b64 s[8:9], s[10:11]
; %bb.127:                              ;   in Loop: Header=BB23_126 Depth=1
	ds_write_b32 v2, v3
; %bb.128:                              ;   in Loop: Header=BB23_126 Depth=1
	s_or_b64 exec, exec, s[8:9]
	s_and_saveexec_b64 s[8:9], s[6:7]
	s_cbranch_execz .LBB23_125
; %bb.129:                              ;   in Loop: Header=BB23_126 Depth=1
	ds_write_b32 v2, v3 offset:1024
	s_branch .LBB23_125
.LBB23_130:
	s_or_b64 exec, exec, s[2:3]
	s_cmp_gt_u32 s45, s44
	s_cselect_b64 s[0:1], -1, 0
	s_cmp_le_u32 s45, s44
	s_waitcnt lgkmcnt(0)
	s_barrier
	s_cbranch_scc1 .LBB23_167
; %bb.131:
	v_and_b32_e32 v2, 3, v0
	v_lshlrev_b32_e32 v2, 2, v2
	s_sub_i32 s2, s45, s44
	v_mov_b32_e32 v3, 1
	s_mov_b32 s3, s2
	v_mov_b32_e32 v22, v2
	s_mov_b32 s4, s44
.LBB23_132:                             ; =>This Inner Loop Header: Depth=1
	s_min_u32 s5, s3, 8
	s_waitcnt vmcnt(17)
	v_lshrrev_b32_e32 v23, s4, v20
	v_bfe_u32 v23, v23, 0, s5
	v_lshl_add_u32 v23, v23, 4, v22
	ds_add_u32 v23, v3
	s_add_i32 s4, s4, 8
	s_add_i32 s3, s3, -8
	s_cmp_ge_u32 s4, s45
	v_add_u32_e32 v22, 0x1000, v22
	s_cbranch_scc0 .LBB23_132
; %bb.133:
	v_mov_b32_e32 v3, 1
	s_mov_b32 s3, s2
	v_mov_b32_e32 v22, v2
	s_mov_b32 s4, s44
.LBB23_134:                             ; =>This Inner Loop Header: Depth=1
	s_min_u32 s5, s3, 8
	s_waitcnt vmcnt(16)
	v_lshrrev_b32_e32 v23, s4, v19
	v_bfe_u32 v23, v23, 0, s5
	v_lshl_add_u32 v23, v23, 4, v22
	ds_add_u32 v23, v3
	s_add_i32 s4, s4, 8
	s_add_i32 s3, s3, -8
	s_cmp_lt_u32 s4, s45
	v_add_u32_e32 v22, 0x1000, v22
	s_cbranch_scc1 .LBB23_134
; %bb.135:
	v_mov_b32_e32 v3, 1
	s_mov_b32 s3, s2
	v_mov_b32_e32 v22, v2
	s_mov_b32 s4, s44
.LBB23_136:                             ; =>This Inner Loop Header: Depth=1
	s_min_u32 s5, s3, 8
	s_waitcnt vmcnt(15)
	v_lshrrev_b32_e32 v23, s4, v18
	v_bfe_u32 v23, v23, 0, s5
	v_lshl_add_u32 v23, v23, 4, v22
	ds_add_u32 v23, v3
	s_add_i32 s4, s4, 8
	s_add_i32 s3, s3, -8
	s_cmp_lt_u32 s4, s45
	v_add_u32_e32 v22, 0x1000, v22
	s_cbranch_scc1 .LBB23_136
	;; [unrolled: 17-line block ×16, first 2 shown]
; %bb.165:
	v_mov_b32_e32 v3, 1
	s_mov_b32 s3, s44
.LBB23_166:                             ; =>This Inner Loop Header: Depth=1
	s_min_u32 s4, s2, 8
	s_waitcnt vmcnt(0)
	v_lshrrev_b32_e32 v22, s3, v1
	v_bfe_u32 v22, v22, 0, s4
	v_lshl_add_u32 v22, v22, 4, v2
	ds_add_u32 v22, v3
	s_add_i32 s3, s3, 8
	s_add_i32 s2, s2, -8
	s_cmp_lt_u32 s3, s45
	v_add_u32_e32 v2, 0x1000, v2
	s_cbranch_scc1 .LBB23_166
.LBB23_167:
	s_and_b64 vcc, exec, s[0:1]
	s_waitcnt lgkmcnt(0)
	s_barrier
	s_cbranch_vccz .LBB23_172
; %bb.168:
	s_movk_i32 s0, 0x100
	v_cmp_gt_u32_e32 vcc, s0, v0
	v_lshlrev_b32_e32 v22, 4, v0
	v_mov_b32_e32 v3, 0
	v_mov_b32_e32 v2, v0
	s_branch .LBB23_170
.LBB23_169:                             ;   in Loop: Header=BB23_170 Depth=1
	s_or_b64 exec, exec, s[0:1]
	s_add_i32 s44, s44, 8
	v_add_u32_e32 v2, 0x100, v2
	s_cmp_ge_u32 s44, s45
	v_add_u32_e32 v22, 0x1000, v22
	s_cbranch_scc1 .LBB23_172
.LBB23_170:                             ; =>This Inner Loop Header: Depth=1
	s_and_saveexec_b64 s[0:1], vcc
	s_cbranch_execz .LBB23_169
; %bb.171:                              ;   in Loop: Header=BB23_170 Depth=1
	ds_read2_b32 v[24:25], v22 offset1:1
	ds_read2_b32 v[26:27], v22 offset0:2 offset1:3
	v_lshl_add_u64 v[28:29], v[2:3], 3, s[38:39]
	s_waitcnt lgkmcnt(1)
	v_add_u32_e32 v23, v25, v24
	s_waitcnt lgkmcnt(0)
	v_add3_u32 v24, v23, v26, v27
	v_mov_b32_e32 v25, v3
	global_atomic_add_x2 v[28:29], v[24:25], off
	s_branch .LBB23_169
.LBB23_172:
	s_mov_b64 s[2:3], 0
.LBB23_173:
	s_and_b64 vcc, exec, s[2:3]
	s_cbranch_vccz .LBB23_182
; %bb.174:
	s_mov_b32 s0, 0
	s_mov_b32 s1, 1
	s_mov_b64 s[2:3], 0
	v_mov_b32_e32 v2, 0
	s_mov_b32 s4, s0
	s_branch .LBB23_176
.LBB23_175:                             ;   in Loop: Header=BB23_176 Depth=1
	s_or_b64 exec, exec, s[8:9]
	s_add_i32 s4, s4, 2
	v_cmp_eq_u32_e64 s[6:7], 8, s4
	s_or_b64 s[2:3], s[6:7], s[2:3]
	v_add_u32_e32 v21, 0x800, v21
	s_andn2_b64 exec, exec, s[2:3]
	s_cbranch_execz .LBB23_180
.LBB23_176:                             ; =>This Inner Loop Header: Depth=1
	s_mov_b32 s5, s4
	s_or_b64 s[8:9], s[4:5], s[0:1]
	v_cmp_le_u32_e64 s[6:7], s9, 7
	v_cmp_le_u32_e64 s[10:11], s8, 7
	s_and_saveexec_b64 s[8:9], s[10:11]
; %bb.177:                              ;   in Loop: Header=BB23_176 Depth=1
	ds_write_b32 v21, v2
; %bb.178:                              ;   in Loop: Header=BB23_176 Depth=1
	s_or_b64 exec, exec, s[8:9]
	s_and_saveexec_b64 s[8:9], s[6:7]
	s_cbranch_execz .LBB23_175
; %bb.179:                              ;   in Loop: Header=BB23_176 Depth=1
	ds_write_b32 v21, v2 offset:1024
	s_branch .LBB23_175
.LBB23_180:
	s_or_b64 exec, exec, s[2:3]
	v_and_b32_e32 v2, 3, v0
	s_waitcnt vmcnt(17)
	v_lshlrev_b32_e32 v3, 4, v20
	v_lshlrev_b32_e32 v2, 2, v2
	s_movk_i32 s0, 0xff0
	v_and_or_b32 v3, v3, s0, v2
	v_mov_b32_e32 v21, 1
	s_waitcnt lgkmcnt(0)
	s_barrier
	ds_add_u32 v3, v21
	v_bfe_u32 v3, v20, 8, 8
	v_lshl_or_b32 v3, v3, 4, v2
	ds_add_u32 v3, v21 offset:4096
	s_waitcnt vmcnt(16)
	v_lshlrev_b32_e32 v3, 4, v19
	v_and_or_b32 v3, v3, s0, v2
	ds_add_u32 v3, v21
	v_bfe_u32 v3, v19, 8, 8
	v_lshl_or_b32 v3, v3, 4, v2
	ds_add_u32 v3, v21 offset:4096
	s_waitcnt vmcnt(15)
	v_lshlrev_b32_e32 v3, 4, v18
	v_and_or_b32 v3, v3, s0, v2
	;; [unrolled: 7-line block ×17, first 2 shown]
	v_bfe_u32 v1, v1, 8, 8
	ds_add_u32 v3, v21
	v_lshl_or_b32 v1, v1, 4, v2
	ds_add_u32 v1, v21 offset:4096
	s_movk_i32 s0, 0x100
	v_cmp_gt_u32_e32 vcc, s0, v0
	s_waitcnt lgkmcnt(0)
	s_barrier
	s_and_saveexec_b64 s[0:1], vcc
	s_cbranch_execz .LBB23_182
; %bb.181:
	v_lshlrev_b32_e32 v6, 4, v0
	ds_read2_b32 v[2:3], v6 offset1:1
	ds_read2_b32 v[4:5], v6 offset0:2 offset1:3
	v_lshlrev_b32_e32 v7, 3, v0
	v_mov_b32_e32 v1, 0
	v_or_b32_e32 v8, 0x1000, v6
	s_waitcnt lgkmcnt(1)
	v_add_u32_e32 v0, v3, v2
	s_waitcnt lgkmcnt(0)
	v_add3_u32 v0, v0, v4, v5
	global_atomic_add_x2 v7, v[0:1], s[38:39]
	v_or_b32_e32 v0, 0x1008, v6
	ds_read2_b32 v[2:3], v8 offset1:1
	ds_read2_b32 v[4:5], v0 offset1:1
	s_waitcnt lgkmcnt(1)
	v_add_u32_e32 v0, v3, v2
	s_waitcnt lgkmcnt(0)
	v_add3_u32 v0, v0, v4, v5
	global_atomic_add_x2 v7, v[0:1], s[38:39] offset:2048
.LBB23_182:
	s_endpgm
	.section	.rodata,"a",@progbits
	.p2align	6, 0x0
	.amdhsa_kernel _ZN7rocprim17ROCPRIM_304000_NS6detail26onesweep_histograms_kernelINS1_34wrapped_radix_sort_onesweep_configINS0_14default_configEtN2at4cuda3cub6detail10OpaqueTypeILi8EEEEELb0EPKtmNS0_19identity_decomposerEEEvT1_PT2_SG_SG_T3_jj
		.amdhsa_group_segment_fixed_size 8192
		.amdhsa_private_segment_fixed_size 0
		.amdhsa_kernarg_size 44
		.amdhsa_user_sgpr_count 2
		.amdhsa_user_sgpr_dispatch_ptr 0
		.amdhsa_user_sgpr_queue_ptr 0
		.amdhsa_user_sgpr_kernarg_segment_ptr 1
		.amdhsa_user_sgpr_dispatch_id 0
		.amdhsa_user_sgpr_kernarg_preload_length 0
		.amdhsa_user_sgpr_kernarg_preload_offset 0
		.amdhsa_user_sgpr_private_segment_size 0
		.amdhsa_uses_dynamic_stack 0
		.amdhsa_enable_private_segment 0
		.amdhsa_system_sgpr_workgroup_id_x 1
		.amdhsa_system_sgpr_workgroup_id_y 0
		.amdhsa_system_sgpr_workgroup_id_z 0
		.amdhsa_system_sgpr_workgroup_info 0
		.amdhsa_system_vgpr_workitem_id 0
		.amdhsa_next_free_vgpr 30
		.amdhsa_next_free_sgpr 56
		.amdhsa_accum_offset 32
		.amdhsa_reserve_vcc 1
		.amdhsa_float_round_mode_32 0
		.amdhsa_float_round_mode_16_64 0
		.amdhsa_float_denorm_mode_32 3
		.amdhsa_float_denorm_mode_16_64 3
		.amdhsa_dx10_clamp 1
		.amdhsa_ieee_mode 1
		.amdhsa_fp16_overflow 0
		.amdhsa_tg_split 0
		.amdhsa_exception_fp_ieee_invalid_op 0
		.amdhsa_exception_fp_denorm_src 0
		.amdhsa_exception_fp_ieee_div_zero 0
		.amdhsa_exception_fp_ieee_overflow 0
		.amdhsa_exception_fp_ieee_underflow 0
		.amdhsa_exception_fp_ieee_inexact 0
		.amdhsa_exception_int_div_zero 0
	.end_amdhsa_kernel
	.section	.text._ZN7rocprim17ROCPRIM_304000_NS6detail26onesweep_histograms_kernelINS1_34wrapped_radix_sort_onesweep_configINS0_14default_configEtN2at4cuda3cub6detail10OpaqueTypeILi8EEEEELb0EPKtmNS0_19identity_decomposerEEEvT1_PT2_SG_SG_T3_jj,"axG",@progbits,_ZN7rocprim17ROCPRIM_304000_NS6detail26onesweep_histograms_kernelINS1_34wrapped_radix_sort_onesweep_configINS0_14default_configEtN2at4cuda3cub6detail10OpaqueTypeILi8EEEEELb0EPKtmNS0_19identity_decomposerEEEvT1_PT2_SG_SG_T3_jj,comdat
.Lfunc_end23:
	.size	_ZN7rocprim17ROCPRIM_304000_NS6detail26onesweep_histograms_kernelINS1_34wrapped_radix_sort_onesweep_configINS0_14default_configEtN2at4cuda3cub6detail10OpaqueTypeILi8EEEEELb0EPKtmNS0_19identity_decomposerEEEvT1_PT2_SG_SG_T3_jj, .Lfunc_end23-_ZN7rocprim17ROCPRIM_304000_NS6detail26onesweep_histograms_kernelINS1_34wrapped_radix_sort_onesweep_configINS0_14default_configEtN2at4cuda3cub6detail10OpaqueTypeILi8EEEEELb0EPKtmNS0_19identity_decomposerEEEvT1_PT2_SG_SG_T3_jj
                                        ; -- End function
	.set _ZN7rocprim17ROCPRIM_304000_NS6detail26onesweep_histograms_kernelINS1_34wrapped_radix_sort_onesweep_configINS0_14default_configEtN2at4cuda3cub6detail10OpaqueTypeILi8EEEEELb0EPKtmNS0_19identity_decomposerEEEvT1_PT2_SG_SG_T3_jj.num_vgpr, 30
	.set _ZN7rocprim17ROCPRIM_304000_NS6detail26onesweep_histograms_kernelINS1_34wrapped_radix_sort_onesweep_configINS0_14default_configEtN2at4cuda3cub6detail10OpaqueTypeILi8EEEEELb0EPKtmNS0_19identity_decomposerEEEvT1_PT2_SG_SG_T3_jj.num_agpr, 0
	.set _ZN7rocprim17ROCPRIM_304000_NS6detail26onesweep_histograms_kernelINS1_34wrapped_radix_sort_onesweep_configINS0_14default_configEtN2at4cuda3cub6detail10OpaqueTypeILi8EEEEELb0EPKtmNS0_19identity_decomposerEEEvT1_PT2_SG_SG_T3_jj.numbered_sgpr, 56
	.set _ZN7rocprim17ROCPRIM_304000_NS6detail26onesweep_histograms_kernelINS1_34wrapped_radix_sort_onesweep_configINS0_14default_configEtN2at4cuda3cub6detail10OpaqueTypeILi8EEEEELb0EPKtmNS0_19identity_decomposerEEEvT1_PT2_SG_SG_T3_jj.num_named_barrier, 0
	.set _ZN7rocprim17ROCPRIM_304000_NS6detail26onesweep_histograms_kernelINS1_34wrapped_radix_sort_onesweep_configINS0_14default_configEtN2at4cuda3cub6detail10OpaqueTypeILi8EEEEELb0EPKtmNS0_19identity_decomposerEEEvT1_PT2_SG_SG_T3_jj.private_seg_size, 0
	.set _ZN7rocprim17ROCPRIM_304000_NS6detail26onesweep_histograms_kernelINS1_34wrapped_radix_sort_onesweep_configINS0_14default_configEtN2at4cuda3cub6detail10OpaqueTypeILi8EEEEELb0EPKtmNS0_19identity_decomposerEEEvT1_PT2_SG_SG_T3_jj.uses_vcc, 1
	.set _ZN7rocprim17ROCPRIM_304000_NS6detail26onesweep_histograms_kernelINS1_34wrapped_radix_sort_onesweep_configINS0_14default_configEtN2at4cuda3cub6detail10OpaqueTypeILi8EEEEELb0EPKtmNS0_19identity_decomposerEEEvT1_PT2_SG_SG_T3_jj.uses_flat_scratch, 0
	.set _ZN7rocprim17ROCPRIM_304000_NS6detail26onesweep_histograms_kernelINS1_34wrapped_radix_sort_onesweep_configINS0_14default_configEtN2at4cuda3cub6detail10OpaqueTypeILi8EEEEELb0EPKtmNS0_19identity_decomposerEEEvT1_PT2_SG_SG_T3_jj.has_dyn_sized_stack, 0
	.set _ZN7rocprim17ROCPRIM_304000_NS6detail26onesweep_histograms_kernelINS1_34wrapped_radix_sort_onesweep_configINS0_14default_configEtN2at4cuda3cub6detail10OpaqueTypeILi8EEEEELb0EPKtmNS0_19identity_decomposerEEEvT1_PT2_SG_SG_T3_jj.has_recursion, 0
	.set _ZN7rocprim17ROCPRIM_304000_NS6detail26onesweep_histograms_kernelINS1_34wrapped_radix_sort_onesweep_configINS0_14default_configEtN2at4cuda3cub6detail10OpaqueTypeILi8EEEEELb0EPKtmNS0_19identity_decomposerEEEvT1_PT2_SG_SG_T3_jj.has_indirect_call, 0
	.section	.AMDGPU.csdata,"",@progbits
; Kernel info:
; codeLenInByte = 5984
; TotalNumSgprs: 62
; NumVgprs: 30
; NumAgprs: 0
; TotalNumVgprs: 30
; ScratchSize: 0
; MemoryBound: 0
; FloatMode: 240
; IeeeMode: 1
; LDSByteSize: 8192 bytes/workgroup (compile time only)
; SGPRBlocks: 7
; VGPRBlocks: 3
; NumSGPRsForWavesPerEU: 62
; NumVGPRsForWavesPerEU: 30
; AccumOffset: 32
; Occupancy: 8
; WaveLimiterHint : 1
; COMPUTE_PGM_RSRC2:SCRATCH_EN: 0
; COMPUTE_PGM_RSRC2:USER_SGPR: 2
; COMPUTE_PGM_RSRC2:TRAP_HANDLER: 0
; COMPUTE_PGM_RSRC2:TGID_X_EN: 1
; COMPUTE_PGM_RSRC2:TGID_Y_EN: 0
; COMPUTE_PGM_RSRC2:TGID_Z_EN: 0
; COMPUTE_PGM_RSRC2:TIDIG_COMP_CNT: 0
; COMPUTE_PGM_RSRC3_GFX90A:ACCUM_OFFSET: 7
; COMPUTE_PGM_RSRC3_GFX90A:TG_SPLIT: 0
	.section	.text._ZN7rocprim17ROCPRIM_304000_NS6detail25onesweep_iteration_kernelINS1_34wrapped_radix_sort_onesweep_configINS0_14default_configEtN2at4cuda3cub6detail10OpaqueTypeILi8EEEEELb0EPKtPtPKSA_PSA_mNS0_19identity_decomposerEEEvT1_T2_T3_T4_jPT5_SO_PNS1_23onesweep_lookback_stateET6_jjj,"axG",@progbits,_ZN7rocprim17ROCPRIM_304000_NS6detail25onesweep_iteration_kernelINS1_34wrapped_radix_sort_onesweep_configINS0_14default_configEtN2at4cuda3cub6detail10OpaqueTypeILi8EEEEELb0EPKtPtPKSA_PSA_mNS0_19identity_decomposerEEEvT1_T2_T3_T4_jPT5_SO_PNS1_23onesweep_lookback_stateET6_jjj,comdat
	.protected	_ZN7rocprim17ROCPRIM_304000_NS6detail25onesweep_iteration_kernelINS1_34wrapped_radix_sort_onesweep_configINS0_14default_configEtN2at4cuda3cub6detail10OpaqueTypeILi8EEEEELb0EPKtPtPKSA_PSA_mNS0_19identity_decomposerEEEvT1_T2_T3_T4_jPT5_SO_PNS1_23onesweep_lookback_stateET6_jjj ; -- Begin function _ZN7rocprim17ROCPRIM_304000_NS6detail25onesweep_iteration_kernelINS1_34wrapped_radix_sort_onesweep_configINS0_14default_configEtN2at4cuda3cub6detail10OpaqueTypeILi8EEEEELb0EPKtPtPKSA_PSA_mNS0_19identity_decomposerEEEvT1_T2_T3_T4_jPT5_SO_PNS1_23onesweep_lookback_stateET6_jjj
	.globl	_ZN7rocprim17ROCPRIM_304000_NS6detail25onesweep_iteration_kernelINS1_34wrapped_radix_sort_onesweep_configINS0_14default_configEtN2at4cuda3cub6detail10OpaqueTypeILi8EEEEELb0EPKtPtPKSA_PSA_mNS0_19identity_decomposerEEEvT1_T2_T3_T4_jPT5_SO_PNS1_23onesweep_lookback_stateET6_jjj
	.p2align	8
	.type	_ZN7rocprim17ROCPRIM_304000_NS6detail25onesweep_iteration_kernelINS1_34wrapped_radix_sort_onesweep_configINS0_14default_configEtN2at4cuda3cub6detail10OpaqueTypeILi8EEEEELb0EPKtPtPKSA_PSA_mNS0_19identity_decomposerEEEvT1_T2_T3_T4_jPT5_SO_PNS1_23onesweep_lookback_stateET6_jjj,@function
_ZN7rocprim17ROCPRIM_304000_NS6detail25onesweep_iteration_kernelINS1_34wrapped_radix_sort_onesweep_configINS0_14default_configEtN2at4cuda3cub6detail10OpaqueTypeILi8EEEEELb0EPKtPtPKSA_PSA_mNS0_19identity_decomposerEEEvT1_T2_T3_T4_jPT5_SO_PNS1_23onesweep_lookback_stateET6_jjj: ; @_ZN7rocprim17ROCPRIM_304000_NS6detail25onesweep_iteration_kernelINS1_34wrapped_radix_sort_onesweep_configINS0_14default_configEtN2at4cuda3cub6detail10OpaqueTypeILi8EEEEELb0EPKtPtPKSA_PSA_mNS0_19identity_decomposerEEEvT1_T2_T3_T4_jPT5_SO_PNS1_23onesweep_lookback_stateET6_jjj
; %bb.0:
	s_load_dwordx8 s[76:83], s[0:1], 0x0
	s_load_dwordx4 s[88:91], s[0:1], 0x44
	s_load_dwordx4 s[84:87], s[0:1], 0x28
	s_load_dwordx2 s[94:95], s[0:1], 0x38
	s_mov_b32 s3, s2
	s_mov_b64 s[4:5], -1
	s_waitcnt lgkmcnt(0)
	s_cmp_ge_u32 s2, s90
	s_mul_i32 s92, s2, 0x1200
	v_mbcnt_lo_u32_b32 v1, -1, 0
	s_cbranch_scc0 .LBB24_218
; %bb.1:
	s_load_dword s6, s[0:1], 0x20
	s_mulk_i32 s90, 0xee00
	s_mov_b32 s93, 0
	s_lshl_b64 s[4:5], s[92:93], 1
	v_mbcnt_hi_u32_b32 v3, -1, v1
	s_waitcnt lgkmcnt(0)
	s_add_i32 s90, s90, s6
	s_add_u32 s4, s76, s4
	v_and_b32_e32 v17, 0xc0, v0
	s_addc_u32 s5, s77, s5
	v_mul_u32_u24_e32 v14, 18, v17
	v_mov_b32_e32 v5, 0
	v_lshlrev_b32_e32 v4, 1, v3
	v_lshl_add_u64 v[6:7], s[4:5], 0, v[4:5]
	v_lshlrev_b32_e32 v4, 1, v14
	v_lshl_add_u64 v[4:5], v[6:7], 0, v[4:5]
	v_or_b32_e32 v7, v3, v14
	v_cmp_gt_u32_e32 vcc, s90, v7
	v_mov_b32_e32 v30, 0xffff
	v_mov_b32_e32 v8, -1
	v_mov_b32_e32 v9, -1
	v_mov_b32_e32 v6, 0xffff
	s_and_saveexec_b64 s[4:5], vcc
	s_cbranch_execz .LBB24_3
; %bb.2:
	global_load_ushort v9, v[4:5], off
	s_waitcnt vmcnt(0)
	v_and_b32_e32 v6, 0xffff, v9
.LBB24_3:
	s_or_b64 exec, exec, s[4:5]
	v_add_u32_e32 v2, 64, v7
	v_cmp_gt_u32_e64 s[74:75], s90, v2
	s_and_saveexec_b64 s[4:5], s[74:75]
	s_cbranch_execz .LBB24_5
; %bb.4:
	global_load_ushort v8, v[4:5], off offset:128
	s_waitcnt vmcnt(0)
	v_and_b32_e32 v30, 0xffff, v8
.LBB24_5:
	s_or_b64 exec, exec, s[4:5]
	v_add_u32_e32 v2, 0x80, v7
	v_cmp_gt_u32_e64 s[4:5], s90, v2
	v_mov_b32_e32 v40, 0xffff
	v_mov_b32_e32 v10, -1
	v_mov_b32_e32 v11, -1
	v_mov_b32_e32 v34, 0xffff
	s_and_saveexec_b64 s[6:7], s[4:5]
	s_cbranch_execz .LBB24_7
; %bb.6:
	global_load_ushort v11, v[4:5], off offset:256
	s_waitcnt vmcnt(0)
	v_and_b32_e32 v34, 0xffff, v11
.LBB24_7:
	s_or_b64 exec, exec, s[6:7]
	v_add_u32_e32 v2, 0xc0, v7
	v_cmp_gt_u32_e64 s[6:7], s90, v2
	s_and_saveexec_b64 s[8:9], s[6:7]
	s_cbranch_execz .LBB24_9
; %bb.8:
	global_load_ushort v10, v[4:5], off offset:384
	s_waitcnt vmcnt(0)
	v_and_b32_e32 v40, 0xffff, v10
.LBB24_9:
	s_or_b64 exec, exec, s[8:9]
	v_add_u32_e32 v2, 0x100, v7
	v_cmp_gt_u32_e64 s[8:9], s90, v2
	v_mov_b32_e32 v48, 0xffff
	v_mov_b32_e32 v12, -1
	v_mov_b32_e32 v13, -1
	v_mov_b32_e32 v44, 0xffff
	s_and_saveexec_b64 s[10:11], s[8:9]
	s_cbranch_execz .LBB24_11
; %bb.10:
	global_load_ushort v13, v[4:5], off offset:512
	s_waitcnt vmcnt(0)
	v_and_b32_e32 v44, 0xffff, v13
.LBB24_11:
	;; [unrolled: 24-line block ×8, first 2 shown]
	s_or_b64 exec, exec, s[36:37]
	v_add_u32_e32 v7, 0x440, v7
	v_and_b32_e32 v2, 0x3ff, v0
	v_cmp_gt_u32_e64 s[36:37], s90, v7
	s_and_saveexec_b64 s[38:39], s[36:37]
	s_cbranch_execz .LBB24_37
; %bb.36:
	global_load_ushort v26, v[4:5], off offset:2176
	s_waitcnt vmcnt(0)
	v_and_b32_e32 v31, 0xffff, v26
.LBB24_37:
	s_or_b64 exec, exec, s[38:39]
	s_load_dword s38, s[0:1], 0x5c
	s_load_dword s33, s[0:1], 0x50
	s_add_u32 s39, s0, 0x50
	s_addc_u32 s40, s1, 0
	v_mov_b32_e32 v5, 0
	s_waitcnt lgkmcnt(0)
	s_lshr_b32 s41, s38, 16
	s_cmp_lt_u32 s2, s33
	s_cselect_b32 s38, 12, 18
	s_add_u32 s38, s39, s38
	s_addc_u32 s39, s40, 0
	global_load_ushort v29, v5, s[38:39]
	v_lshrrev_b32_e32 v33, s88, v6
	s_lshl_b32 s38, -1, s89
	v_bfe_u32 v4, v0, 10, 10
	v_bfe_u32 v7, v0, 20, 10
	v_bitop3_b32 v41, v33, s38, v33 bitop3:0x30
	v_mad_u32_u24 v39, v7, s41, v4
	v_and_b32_e32 v4, 1, v41
	v_lshlrev_b32_e32 v7, 30, v41
	v_mov_b32_e32 v6, v5
	v_mov_b32_e32 v36, v5
	s_not_b32 s96, s38
	v_lshlrev_b32_e32 v33, 29, v41
	v_lshlrev_b32_e32 v37, 28, v41
	v_lshl_add_u64 v[68:69], v[4:5], 0, -1
	v_cmp_ne_u32_e64 s[38:39], 0, v4
	v_not_b32_e32 v4, v7
	v_mov_b32_e32 v32, v5
	v_cmp_gt_i64_e64 s[40:41], 0, v[6:7]
	v_not_b32_e32 v6, v33
	v_cmp_gt_i64_e64 s[44:45], 0, v[36:37]
	v_not_b32_e32 v7, v37
	v_xor_b32_e32 v37, s39, v69
	v_ashrrev_i32_e32 v4, 31, v4
	v_mul_u32_u24_e32 v43, 20, v41
	v_lshlrev_b32_e32 v55, 27, v41
	v_lshlrev_b32_e32 v63, 26, v41
	;; [unrolled: 1-line block ×4, first 2 shown]
	v_cmp_gt_i64_e64 s[42:43], 0, v[32:33]
	v_xor_b32_e32 v41, s38, v68
	v_ashrrev_i32_e32 v6, 31, v6
	v_and_b32_e32 v37, exec_hi, v37
	v_xor_b32_e32 v45, s41, v4
	v_mov_b32_e32 v54, v5
	v_not_b32_e32 v32, v55
	v_ashrrev_i32_e32 v7, 31, v7
	v_and_b32_e32 v41, exec_lo, v41
	v_xor_b32_e32 v4, s40, v4
	v_xor_b32_e32 v47, s43, v6
	v_and_b32_e32 v37, v37, v45
	v_mov_b32_e32 v62, v5
	v_cmp_gt_i64_e64 s[46:47], 0, v[54:55]
	v_not_b32_e32 v33, v63
	v_ashrrev_i32_e32 v32, 31, v32
	v_xor_b32_e32 v6, s42, v6
	v_xor_b32_e32 v49, s45, v7
	v_and_b32_e32 v4, v41, v4
	v_and_b32_e32 v37, v37, v47
	v_mov_b32_e32 v64, v5
	v_cmp_gt_i64_e64 s[48:49], 0, v[62:63]
	v_not_b32_e32 v36, v65
	v_ashrrev_i32_e32 v33, 31, v33
	v_xor_b32_e32 v51, s47, v32
	v_and_b32_e32 v4, v4, v6
	v_and_b32_e32 v6, v37, v49
	v_cmp_gt_i64_e64 s[50:51], 0, v[64:65]
	v_ashrrev_i32_e32 v36, 31, v36
	v_xor_b32_e32 v7, s44, v7
	v_xor_b32_e32 v54, s49, v33
	v_and_b32_e32 v6, v6, v51
	v_xor_b32_e32 v32, s46, v32
	v_xor_b32_e32 v55, s51, v36
	v_and_b32_e32 v4, v4, v7
	v_and_b32_e32 v6, v6, v54
	v_xor_b32_e32 v33, s48, v33
	v_and_b32_e32 v4, v4, v32
	v_and_b32_e32 v32, v6, v55
	v_xor_b32_e32 v36, s50, v36
	v_and_b32_e32 v4, v4, v33
	v_mov_b32_e32 v66, v5
	v_and_b32_e32 v4, v4, v36
	v_mul_u32_u24_e32 v28, 20, v2
	ds_write2_b32 v28, v5, v5 offset0:4 offset1:5
	ds_write2_b32 v28, v5, v5 offset0:6 offset1:7
	ds_write_b32 v28, v5 offset:32
	s_waitcnt lgkmcnt(0)
	s_barrier
	s_waitcnt vmcnt(0)
	; wave barrier
	v_mad_u64_u32 v[6:7], s[38:39], v39, v29, v[2:3]
	v_lshrrev_b32_e32 v6, 4, v6
	v_and_b32_e32 v36, 0xffffffc, v6
	v_not_b32_e32 v6, v67
	v_cmp_gt_i64_e64 s[38:39], 0, v[66:67]
	v_ashrrev_i32_e32 v6, 31, v6
	s_nop 0
	v_xor_b32_e32 v7, s39, v6
	v_xor_b32_e32 v6, s38, v6
	v_and_b32_e32 v6, v4, v6
	v_and_b32_e32 v7, v32, v7
	v_mbcnt_lo_u32_b32 v4, v6, 0
	v_mbcnt_hi_u32_b32 v29, v7, v4
	v_cmp_eq_u32_e64 s[38:39], 0, v29
	v_cmp_ne_u64_e64 s[40:41], 0, v[6:7]
	s_and_b64 s[40:41], s[40:41], s[38:39]
	v_add_u32_e32 v32, v36, v43
	s_and_saveexec_b64 s[38:39], s[40:41]
; %bb.38:
	v_bcnt_u32_b32 v4, v6, 0
	v_bcnt_u32_b32 v4, v7, v4
	ds_write_b32 v32, v4 offset:16
; %bb.39:
	s_or_b64 exec, exec, s[38:39]
	v_lshrrev_b32_e32 v4, s88, v30
	v_and_b32_e32 v33, s96, v4
	v_mad_u32_u24 v4, v33, 20, v36
	; wave barrier
	ds_read_b32 v30, v4 offset:16
	v_and_b32_e32 v4, 1, v33
	v_lshl_add_u64 v[6:7], v[4:5], 0, -1
	v_cmp_ne_u32_e64 s[38:39], 0, v4
	v_mul_u32_u24_e32 v37, 20, v33
	v_add_u32_e32 v37, v36, v37
	v_xor_b32_e32 v6, s38, v6
	v_xor_b32_e32 v4, s39, v7
	v_and_b32_e32 v39, exec_lo, v6
	v_lshlrev_b32_e32 v7, 30, v33
	v_mov_b32_e32 v6, v5
	v_cmp_gt_i64_e64 s[38:39], 0, v[6:7]
	v_not_b32_e32 v6, v7
	v_ashrrev_i32_e32 v6, 31, v6
	v_and_b32_e32 v4, exec_hi, v4
	v_xor_b32_e32 v7, s39, v6
	v_xor_b32_e32 v6, s38, v6
	v_and_b32_e32 v4, v4, v7
	v_and_b32_e32 v39, v39, v6
	v_lshlrev_b32_e32 v7, 29, v33
	v_mov_b32_e32 v6, v5
	v_cmp_gt_i64_e64 s[38:39], 0, v[6:7]
	v_not_b32_e32 v6, v7
	v_ashrrev_i32_e32 v6, 31, v6
	v_xor_b32_e32 v7, s39, v6
	v_xor_b32_e32 v6, s38, v6
	v_and_b32_e32 v4, v4, v7
	v_and_b32_e32 v39, v39, v6
	v_lshlrev_b32_e32 v7, 28, v33
	v_mov_b32_e32 v6, v5
	v_cmp_gt_i64_e64 s[38:39], 0, v[6:7]
	v_not_b32_e32 v6, v7
	v_ashrrev_i32_e32 v6, 31, v6
	;; [unrolled: 9-line block ×5, first 2 shown]
	v_xor_b32_e32 v7, s39, v6
	v_xor_b32_e32 v6, s38, v6
	v_and_b32_e32 v4, v4, v7
	v_lshlrev_b32_e32 v7, 24, v33
	v_and_b32_e32 v39, v39, v6
	v_mov_b32_e32 v6, v5
	v_not_b32_e32 v5, v7
	v_cmp_gt_i64_e64 s[38:39], 0, v[6:7]
	v_ashrrev_i32_e32 v5, 31, v5
	s_nop 0
	v_xor_b32_e32 v6, s39, v5
	v_xor_b32_e32 v7, s38, v5
	v_and_b32_e32 v5, v4, v6
	v_and_b32_e32 v4, v39, v7
	v_mbcnt_lo_u32_b32 v6, v4, 0
	v_mbcnt_hi_u32_b32 v33, v5, v6
	v_cmp_eq_u32_e64 s[38:39], 0, v33
	v_cmp_ne_u64_e64 s[40:41], 0, v[4:5]
	s_and_b64 s[40:41], s[40:41], s[38:39]
	; wave barrier
	s_and_saveexec_b64 s[38:39], s[40:41]
	s_cbranch_execz .LBB24_41
; %bb.40:
	v_bcnt_u32_b32 v4, v4, 0
	v_bcnt_u32_b32 v4, v5, v4
	s_waitcnt lgkmcnt(0)
	v_add_u32_e32 v4, v30, v4
	ds_write_b32 v37, v4 offset:16
.LBB24_41:
	s_or_b64 exec, exec, s[38:39]
	v_lshrrev_b32_e32 v4, s88, v34
	v_and_b32_e32 v39, s96, v4
	v_mad_u32_u24 v4, v39, 20, v36
	; wave barrier
	ds_read_b32 v34, v4 offset:16
	v_and_b32_e32 v4, 1, v39
	v_mov_b32_e32 v5, 0
	v_lshl_add_u64 v[6:7], v[4:5], 0, -1
	v_cmp_ne_u32_e64 s[38:39], 0, v4
	v_mul_u32_u24_e32 v41, 20, v39
	v_add_u32_e32 v41, v36, v41
	v_xor_b32_e32 v6, s38, v6
	v_xor_b32_e32 v4, s39, v7
	v_and_b32_e32 v43, exec_lo, v6
	v_lshlrev_b32_e32 v7, 30, v39
	v_mov_b32_e32 v6, v5
	v_cmp_gt_i64_e64 s[38:39], 0, v[6:7]
	v_not_b32_e32 v6, v7
	v_ashrrev_i32_e32 v6, 31, v6
	v_and_b32_e32 v4, exec_hi, v4
	v_xor_b32_e32 v7, s39, v6
	v_xor_b32_e32 v6, s38, v6
	v_and_b32_e32 v4, v4, v7
	v_and_b32_e32 v43, v43, v6
	v_lshlrev_b32_e32 v7, 29, v39
	v_mov_b32_e32 v6, v5
	v_cmp_gt_i64_e64 s[38:39], 0, v[6:7]
	v_not_b32_e32 v6, v7
	v_ashrrev_i32_e32 v6, 31, v6
	v_xor_b32_e32 v7, s39, v6
	v_xor_b32_e32 v6, s38, v6
	v_and_b32_e32 v4, v4, v7
	v_and_b32_e32 v43, v43, v6
	v_lshlrev_b32_e32 v7, 28, v39
	v_mov_b32_e32 v6, v5
	v_cmp_gt_i64_e64 s[38:39], 0, v[6:7]
	v_not_b32_e32 v6, v7
	v_ashrrev_i32_e32 v6, 31, v6
	;; [unrolled: 9-line block ×6, first 2 shown]
	v_xor_b32_e32 v7, s39, v6
	v_xor_b32_e32 v6, s38, v6
	v_and_b32_e32 v6, v43, v6
	v_and_b32_e32 v7, v4, v7
	v_mbcnt_lo_u32_b32 v4, v6, 0
	v_mbcnt_hi_u32_b32 v39, v7, v4
	v_cmp_eq_u32_e64 s[38:39], 0, v39
	v_cmp_ne_u64_e64 s[40:41], 0, v[6:7]
	s_and_b64 s[40:41], s[40:41], s[38:39]
	; wave barrier
	s_and_saveexec_b64 s[38:39], s[40:41]
	s_cbranch_execz .LBB24_43
; %bb.42:
	v_bcnt_u32_b32 v4, v6, 0
	v_bcnt_u32_b32 v4, v7, v4
	s_waitcnt lgkmcnt(0)
	v_add_u32_e32 v4, v34, v4
	ds_write_b32 v41, v4 offset:16
.LBB24_43:
	s_or_b64 exec, exec, s[38:39]
	v_lshrrev_b32_e32 v4, s88, v40
	v_and_b32_e32 v43, s96, v4
	v_mad_u32_u24 v4, v43, 20, v36
	; wave barrier
	ds_read_b32 v40, v4 offset:16
	v_and_b32_e32 v4, 1, v43
	v_lshl_add_u64 v[6:7], v[4:5], 0, -1
	v_cmp_ne_u32_e64 s[38:39], 0, v4
	v_mul_u32_u24_e32 v45, 20, v43
	v_add_u32_e32 v45, v36, v45
	v_xor_b32_e32 v6, s38, v6
	v_xor_b32_e32 v4, s39, v7
	v_and_b32_e32 v47, exec_lo, v6
	v_lshlrev_b32_e32 v7, 30, v43
	v_mov_b32_e32 v6, v5
	v_cmp_gt_i64_e64 s[38:39], 0, v[6:7]
	v_not_b32_e32 v6, v7
	v_ashrrev_i32_e32 v6, 31, v6
	v_and_b32_e32 v4, exec_hi, v4
	v_xor_b32_e32 v7, s39, v6
	v_xor_b32_e32 v6, s38, v6
	v_and_b32_e32 v4, v4, v7
	v_and_b32_e32 v47, v47, v6
	v_lshlrev_b32_e32 v7, 29, v43
	v_mov_b32_e32 v6, v5
	v_cmp_gt_i64_e64 s[38:39], 0, v[6:7]
	v_not_b32_e32 v6, v7
	v_ashrrev_i32_e32 v6, 31, v6
	v_xor_b32_e32 v7, s39, v6
	v_xor_b32_e32 v6, s38, v6
	v_and_b32_e32 v4, v4, v7
	v_and_b32_e32 v47, v47, v6
	v_lshlrev_b32_e32 v7, 28, v43
	v_mov_b32_e32 v6, v5
	v_cmp_gt_i64_e64 s[38:39], 0, v[6:7]
	v_not_b32_e32 v6, v7
	v_ashrrev_i32_e32 v6, 31, v6
	v_xor_b32_e32 v7, s39, v6
	v_xor_b32_e32 v6, s38, v6
	v_and_b32_e32 v4, v4, v7
	v_and_b32_e32 v47, v47, v6
	v_lshlrev_b32_e32 v7, 27, v43
	v_mov_b32_e32 v6, v5
	v_cmp_gt_i64_e64 s[38:39], 0, v[6:7]
	v_not_b32_e32 v6, v7
	v_ashrrev_i32_e32 v6, 31, v6
	v_xor_b32_e32 v7, s39, v6
	v_xor_b32_e32 v6, s38, v6
	v_and_b32_e32 v4, v4, v7
	v_and_b32_e32 v47, v47, v6
	v_lshlrev_b32_e32 v7, 26, v43
	v_mov_b32_e32 v6, v5
	v_cmp_gt_i64_e64 s[38:39], 0, v[6:7]
	v_not_b32_e32 v6, v7
	v_ashrrev_i32_e32 v6, 31, v6
	v_xor_b32_e32 v7, s39, v6
	v_xor_b32_e32 v6, s38, v6
	v_and_b32_e32 v4, v4, v7
	v_and_b32_e32 v47, v47, v6
	v_lshlrev_b32_e32 v7, 25, v43
	v_mov_b32_e32 v6, v5
	v_cmp_gt_i64_e64 s[38:39], 0, v[6:7]
	v_not_b32_e32 v6, v7
	v_ashrrev_i32_e32 v6, 31, v6
	v_xor_b32_e32 v7, s39, v6
	v_xor_b32_e32 v6, s38, v6
	v_and_b32_e32 v4, v4, v7
	v_lshlrev_b32_e32 v7, 24, v43
	v_and_b32_e32 v47, v47, v6
	v_mov_b32_e32 v6, v5
	v_not_b32_e32 v5, v7
	v_cmp_gt_i64_e64 s[38:39], 0, v[6:7]
	v_ashrrev_i32_e32 v5, 31, v5
	s_nop 0
	v_xor_b32_e32 v6, s39, v5
	v_xor_b32_e32 v7, s38, v5
	v_and_b32_e32 v5, v4, v6
	v_and_b32_e32 v4, v47, v7
	v_mbcnt_lo_u32_b32 v6, v4, 0
	v_mbcnt_hi_u32_b32 v43, v5, v6
	v_cmp_eq_u32_e64 s[38:39], 0, v43
	v_cmp_ne_u64_e64 s[40:41], 0, v[4:5]
	s_and_b64 s[40:41], s[40:41], s[38:39]
	; wave barrier
	s_and_saveexec_b64 s[38:39], s[40:41]
	s_cbranch_execz .LBB24_45
; %bb.44:
	v_bcnt_u32_b32 v4, v4, 0
	v_bcnt_u32_b32 v4, v5, v4
	s_waitcnt lgkmcnt(0)
	v_add_u32_e32 v4, v40, v4
	ds_write_b32 v45, v4 offset:16
.LBB24_45:
	s_or_b64 exec, exec, s[38:39]
	v_lshrrev_b32_e32 v4, s88, v44
	v_and_b32_e32 v47, s96, v4
	v_mad_u32_u24 v4, v47, 20, v36
	; wave barrier
	ds_read_b32 v44, v4 offset:16
	v_and_b32_e32 v4, 1, v47
	v_mov_b32_e32 v5, 0
	v_lshl_add_u64 v[6:7], v[4:5], 0, -1
	v_cmp_ne_u32_e64 s[38:39], 0, v4
	v_mul_u32_u24_e32 v49, 20, v47
	v_add_u32_e32 v49, v36, v49
	v_xor_b32_e32 v6, s38, v6
	v_xor_b32_e32 v4, s39, v7
	v_and_b32_e32 v51, exec_lo, v6
	v_lshlrev_b32_e32 v7, 30, v47
	v_mov_b32_e32 v6, v5
	v_cmp_gt_i64_e64 s[38:39], 0, v[6:7]
	v_not_b32_e32 v6, v7
	v_ashrrev_i32_e32 v6, 31, v6
	v_and_b32_e32 v4, exec_hi, v4
	v_xor_b32_e32 v7, s39, v6
	v_xor_b32_e32 v6, s38, v6
	v_and_b32_e32 v4, v4, v7
	v_and_b32_e32 v51, v51, v6
	v_lshlrev_b32_e32 v7, 29, v47
	v_mov_b32_e32 v6, v5
	v_cmp_gt_i64_e64 s[38:39], 0, v[6:7]
	v_not_b32_e32 v6, v7
	v_ashrrev_i32_e32 v6, 31, v6
	v_xor_b32_e32 v7, s39, v6
	v_xor_b32_e32 v6, s38, v6
	v_and_b32_e32 v4, v4, v7
	v_and_b32_e32 v51, v51, v6
	v_lshlrev_b32_e32 v7, 28, v47
	v_mov_b32_e32 v6, v5
	v_cmp_gt_i64_e64 s[38:39], 0, v[6:7]
	v_not_b32_e32 v6, v7
	v_ashrrev_i32_e32 v6, 31, v6
	;; [unrolled: 9-line block ×6, first 2 shown]
	v_xor_b32_e32 v7, s39, v6
	v_xor_b32_e32 v6, s38, v6
	v_and_b32_e32 v6, v51, v6
	v_and_b32_e32 v7, v4, v7
	v_mbcnt_lo_u32_b32 v4, v6, 0
	v_mbcnt_hi_u32_b32 v47, v7, v4
	v_cmp_eq_u32_e64 s[38:39], 0, v47
	v_cmp_ne_u64_e64 s[40:41], 0, v[6:7]
	s_and_b64 s[40:41], s[40:41], s[38:39]
	; wave barrier
	s_and_saveexec_b64 s[38:39], s[40:41]
	s_cbranch_execz .LBB24_47
; %bb.46:
	v_bcnt_u32_b32 v4, v6, 0
	v_bcnt_u32_b32 v4, v7, v4
	s_waitcnt lgkmcnt(0)
	v_add_u32_e32 v4, v44, v4
	ds_write_b32 v49, v4 offset:16
.LBB24_47:
	s_or_b64 exec, exec, s[38:39]
	v_lshrrev_b32_e32 v4, s88, v48
	v_and_b32_e32 v51, s96, v4
	v_mad_u32_u24 v4, v51, 20, v36
	; wave barrier
	ds_read_b32 v48, v4 offset:16
	v_and_b32_e32 v4, 1, v51
	v_lshl_add_u64 v[6:7], v[4:5], 0, -1
	v_cmp_ne_u32_e64 s[38:39], 0, v4
	v_mul_u32_u24_e32 v54, 20, v51
	v_add_u32_e32 v54, v36, v54
	v_xor_b32_e32 v6, s38, v6
	v_xor_b32_e32 v4, s39, v7
	v_and_b32_e32 v55, exec_lo, v6
	v_lshlrev_b32_e32 v7, 30, v51
	v_mov_b32_e32 v6, v5
	v_cmp_gt_i64_e64 s[38:39], 0, v[6:7]
	v_not_b32_e32 v6, v7
	v_ashrrev_i32_e32 v6, 31, v6
	v_and_b32_e32 v4, exec_hi, v4
	v_xor_b32_e32 v7, s39, v6
	v_xor_b32_e32 v6, s38, v6
	v_and_b32_e32 v4, v4, v7
	v_and_b32_e32 v55, v55, v6
	v_lshlrev_b32_e32 v7, 29, v51
	v_mov_b32_e32 v6, v5
	v_cmp_gt_i64_e64 s[38:39], 0, v[6:7]
	v_not_b32_e32 v6, v7
	v_ashrrev_i32_e32 v6, 31, v6
	v_xor_b32_e32 v7, s39, v6
	v_xor_b32_e32 v6, s38, v6
	v_and_b32_e32 v4, v4, v7
	v_and_b32_e32 v55, v55, v6
	v_lshlrev_b32_e32 v7, 28, v51
	v_mov_b32_e32 v6, v5
	v_cmp_gt_i64_e64 s[38:39], 0, v[6:7]
	v_not_b32_e32 v6, v7
	v_ashrrev_i32_e32 v6, 31, v6
	;; [unrolled: 9-line block ×5, first 2 shown]
	v_xor_b32_e32 v7, s39, v6
	v_xor_b32_e32 v6, s38, v6
	v_and_b32_e32 v4, v4, v7
	v_lshlrev_b32_e32 v7, 24, v51
	v_and_b32_e32 v55, v55, v6
	v_mov_b32_e32 v6, v5
	v_not_b32_e32 v5, v7
	v_cmp_gt_i64_e64 s[38:39], 0, v[6:7]
	v_ashrrev_i32_e32 v5, 31, v5
	s_nop 0
	v_xor_b32_e32 v6, s39, v5
	v_xor_b32_e32 v7, s38, v5
	v_and_b32_e32 v5, v4, v6
	v_and_b32_e32 v4, v55, v7
	v_mbcnt_lo_u32_b32 v6, v4, 0
	v_mbcnt_hi_u32_b32 v51, v5, v6
	v_cmp_eq_u32_e64 s[38:39], 0, v51
	v_cmp_ne_u64_e64 s[40:41], 0, v[4:5]
	s_and_b64 s[40:41], s[40:41], s[38:39]
	; wave barrier
	s_and_saveexec_b64 s[38:39], s[40:41]
	s_cbranch_execz .LBB24_49
; %bb.48:
	v_bcnt_u32_b32 v4, v4, 0
	v_bcnt_u32_b32 v4, v5, v4
	s_waitcnt lgkmcnt(0)
	v_add_u32_e32 v4, v48, v4
	ds_write_b32 v54, v4 offset:16
.LBB24_49:
	s_or_b64 exec, exec, s[38:39]
	v_lshrrev_b32_e32 v4, s88, v52
	v_and_b32_e32 v55, s96, v4
	v_mad_u32_u24 v4, v55, 20, v36
	; wave barrier
	ds_read_b32 v52, v4 offset:16
	v_and_b32_e32 v4, 1, v55
	v_mov_b32_e32 v5, 0
	v_lshl_add_u64 v[6:7], v[4:5], 0, -1
	v_cmp_ne_u32_e64 s[38:39], 0, v4
	v_mul_u32_u24_e32 v58, 20, v55
	v_add_u32_e32 v58, v36, v58
	v_xor_b32_e32 v6, s38, v6
	v_xor_b32_e32 v4, s39, v7
	v_and_b32_e32 v60, exec_lo, v6
	v_lshlrev_b32_e32 v7, 30, v55
	v_mov_b32_e32 v6, v5
	v_cmp_gt_i64_e64 s[38:39], 0, v[6:7]
	v_not_b32_e32 v6, v7
	v_ashrrev_i32_e32 v6, 31, v6
	v_and_b32_e32 v4, exec_hi, v4
	v_xor_b32_e32 v7, s39, v6
	v_xor_b32_e32 v6, s38, v6
	v_and_b32_e32 v4, v4, v7
	v_and_b32_e32 v60, v60, v6
	v_lshlrev_b32_e32 v7, 29, v55
	v_mov_b32_e32 v6, v5
	v_cmp_gt_i64_e64 s[38:39], 0, v[6:7]
	v_not_b32_e32 v6, v7
	v_ashrrev_i32_e32 v6, 31, v6
	v_xor_b32_e32 v7, s39, v6
	v_xor_b32_e32 v6, s38, v6
	v_and_b32_e32 v4, v4, v7
	v_and_b32_e32 v60, v60, v6
	v_lshlrev_b32_e32 v7, 28, v55
	v_mov_b32_e32 v6, v5
	v_cmp_gt_i64_e64 s[38:39], 0, v[6:7]
	v_not_b32_e32 v6, v7
	v_ashrrev_i32_e32 v6, 31, v6
	;; [unrolled: 9-line block ×6, first 2 shown]
	v_xor_b32_e32 v7, s39, v6
	v_xor_b32_e32 v6, s38, v6
	v_and_b32_e32 v6, v60, v6
	v_and_b32_e32 v7, v4, v7
	v_mbcnt_lo_u32_b32 v4, v6, 0
	v_mbcnt_hi_u32_b32 v55, v7, v4
	v_cmp_eq_u32_e64 s[38:39], 0, v55
	v_cmp_ne_u64_e64 s[40:41], 0, v[6:7]
	s_and_b64 s[40:41], s[40:41], s[38:39]
	; wave barrier
	s_and_saveexec_b64 s[38:39], s[40:41]
	s_cbranch_execz .LBB24_51
; %bb.50:
	v_bcnt_u32_b32 v4, v6, 0
	v_bcnt_u32_b32 v4, v7, v4
	s_waitcnt lgkmcnt(0)
	v_add_u32_e32 v4, v52, v4
	ds_write_b32 v58, v4 offset:16
.LBB24_51:
	s_or_b64 exec, exec, s[38:39]
	v_lshrrev_b32_e32 v4, s88, v56
	v_and_b32_e32 v60, s96, v4
	v_mad_u32_u24 v4, v60, 20, v36
	; wave barrier
	ds_read_b32 v56, v4 offset:16
	v_and_b32_e32 v4, 1, v60
	v_lshl_add_u64 v[6:7], v[4:5], 0, -1
	v_cmp_ne_u32_e64 s[38:39], 0, v4
	v_mul_u32_u24_e32 v62, 20, v60
	v_add_u32_e32 v62, v36, v62
	v_xor_b32_e32 v6, s38, v6
	v_xor_b32_e32 v4, s39, v7
	v_and_b32_e32 v63, exec_lo, v6
	v_lshlrev_b32_e32 v7, 30, v60
	v_mov_b32_e32 v6, v5
	v_cmp_gt_i64_e64 s[38:39], 0, v[6:7]
	v_not_b32_e32 v6, v7
	v_ashrrev_i32_e32 v6, 31, v6
	v_and_b32_e32 v4, exec_hi, v4
	v_xor_b32_e32 v7, s39, v6
	v_xor_b32_e32 v6, s38, v6
	v_and_b32_e32 v4, v4, v7
	v_and_b32_e32 v63, v63, v6
	v_lshlrev_b32_e32 v7, 29, v60
	v_mov_b32_e32 v6, v5
	v_cmp_gt_i64_e64 s[38:39], 0, v[6:7]
	v_not_b32_e32 v6, v7
	v_ashrrev_i32_e32 v6, 31, v6
	v_xor_b32_e32 v7, s39, v6
	v_xor_b32_e32 v6, s38, v6
	v_and_b32_e32 v4, v4, v7
	v_and_b32_e32 v63, v63, v6
	v_lshlrev_b32_e32 v7, 28, v60
	v_mov_b32_e32 v6, v5
	v_cmp_gt_i64_e64 s[38:39], 0, v[6:7]
	v_not_b32_e32 v6, v7
	v_ashrrev_i32_e32 v6, 31, v6
	;; [unrolled: 9-line block ×5, first 2 shown]
	v_xor_b32_e32 v7, s39, v6
	v_xor_b32_e32 v6, s38, v6
	v_and_b32_e32 v4, v4, v7
	v_lshlrev_b32_e32 v7, 24, v60
	v_and_b32_e32 v63, v63, v6
	v_mov_b32_e32 v6, v5
	v_not_b32_e32 v5, v7
	v_cmp_gt_i64_e64 s[38:39], 0, v[6:7]
	v_ashrrev_i32_e32 v5, 31, v5
	s_nop 0
	v_xor_b32_e32 v6, s39, v5
	v_xor_b32_e32 v7, s38, v5
	v_and_b32_e32 v5, v4, v6
	v_and_b32_e32 v4, v63, v7
	v_mbcnt_lo_u32_b32 v6, v4, 0
	v_mbcnt_hi_u32_b32 v60, v5, v6
	v_cmp_eq_u32_e64 s[38:39], 0, v60
	v_cmp_ne_u64_e64 s[40:41], 0, v[4:5]
	s_and_b64 s[40:41], s[40:41], s[38:39]
	; wave barrier
	s_and_saveexec_b64 s[38:39], s[40:41]
	s_cbranch_execz .LBB24_53
; %bb.52:
	v_bcnt_u32_b32 v4, v4, 0
	v_bcnt_u32_b32 v4, v5, v4
	s_waitcnt lgkmcnt(0)
	v_add_u32_e32 v4, v56, v4
	ds_write_b32 v62, v4 offset:16
.LBB24_53:
	s_or_b64 exec, exec, s[38:39]
	v_lshrrev_b32_e32 v4, s88, v61
	v_and_b32_e32 v63, s96, v4
	v_mad_u32_u24 v4, v63, 20, v36
	; wave barrier
	ds_read_b32 v61, v4 offset:16
	v_and_b32_e32 v4, 1, v63
	v_mov_b32_e32 v5, 0
	v_lshl_add_u64 v[6:7], v[4:5], 0, -1
	v_cmp_ne_u32_e64 s[38:39], 0, v4
	v_mul_u32_u24_e32 v64, 20, v63
	v_add_u32_e32 v64, v36, v64
	v_xor_b32_e32 v6, s38, v6
	v_xor_b32_e32 v4, s39, v7
	v_and_b32_e32 v65, exec_lo, v6
	v_lshlrev_b32_e32 v7, 30, v63
	v_mov_b32_e32 v6, v5
	v_cmp_gt_i64_e64 s[38:39], 0, v[6:7]
	v_not_b32_e32 v6, v7
	v_ashrrev_i32_e32 v6, 31, v6
	v_and_b32_e32 v4, exec_hi, v4
	v_xor_b32_e32 v7, s39, v6
	v_xor_b32_e32 v6, s38, v6
	v_and_b32_e32 v4, v4, v7
	v_and_b32_e32 v65, v65, v6
	v_lshlrev_b32_e32 v7, 29, v63
	v_mov_b32_e32 v6, v5
	v_cmp_gt_i64_e64 s[38:39], 0, v[6:7]
	v_not_b32_e32 v6, v7
	v_ashrrev_i32_e32 v6, 31, v6
	v_xor_b32_e32 v7, s39, v6
	v_xor_b32_e32 v6, s38, v6
	v_and_b32_e32 v4, v4, v7
	v_and_b32_e32 v65, v65, v6
	v_lshlrev_b32_e32 v7, 28, v63
	v_mov_b32_e32 v6, v5
	v_cmp_gt_i64_e64 s[38:39], 0, v[6:7]
	v_not_b32_e32 v6, v7
	v_ashrrev_i32_e32 v6, 31, v6
	;; [unrolled: 9-line block ×6, first 2 shown]
	v_xor_b32_e32 v7, s39, v6
	v_xor_b32_e32 v6, s38, v6
	v_and_b32_e32 v6, v65, v6
	v_and_b32_e32 v7, v4, v7
	v_mbcnt_lo_u32_b32 v4, v6, 0
	v_mbcnt_hi_u32_b32 v63, v7, v4
	v_cmp_eq_u32_e64 s[38:39], 0, v63
	v_cmp_ne_u64_e64 s[40:41], 0, v[6:7]
	s_and_b64 s[40:41], s[40:41], s[38:39]
	; wave barrier
	s_and_saveexec_b64 s[38:39], s[40:41]
	s_cbranch_execz .LBB24_55
; %bb.54:
	v_bcnt_u32_b32 v4, v6, 0
	v_bcnt_u32_b32 v4, v7, v4
	s_waitcnt lgkmcnt(0)
	v_add_u32_e32 v4, v61, v4
	ds_write_b32 v64, v4 offset:16
.LBB24_55:
	s_or_b64 exec, exec, s[38:39]
	v_lshrrev_b32_e32 v4, s88, v59
	v_and_b32_e32 v65, s96, v4
	v_mad_u32_u24 v4, v65, 20, v36
	; wave barrier
	ds_read_b32 v59, v4 offset:16
	v_and_b32_e32 v4, 1, v65
	v_lshl_add_u64 v[6:7], v[4:5], 0, -1
	v_cmp_ne_u32_e64 s[38:39], 0, v4
	v_mul_u32_u24_e32 v66, 20, v65
	v_add_u32_e32 v66, v36, v66
	v_xor_b32_e32 v6, s38, v6
	v_xor_b32_e32 v4, s39, v7
	v_and_b32_e32 v67, exec_lo, v6
	v_lshlrev_b32_e32 v7, 30, v65
	v_mov_b32_e32 v6, v5
	v_cmp_gt_i64_e64 s[38:39], 0, v[6:7]
	v_not_b32_e32 v6, v7
	v_ashrrev_i32_e32 v6, 31, v6
	v_and_b32_e32 v4, exec_hi, v4
	v_xor_b32_e32 v7, s39, v6
	v_xor_b32_e32 v6, s38, v6
	v_and_b32_e32 v4, v4, v7
	v_and_b32_e32 v67, v67, v6
	v_lshlrev_b32_e32 v7, 29, v65
	v_mov_b32_e32 v6, v5
	v_cmp_gt_i64_e64 s[38:39], 0, v[6:7]
	v_not_b32_e32 v6, v7
	v_ashrrev_i32_e32 v6, 31, v6
	v_xor_b32_e32 v7, s39, v6
	v_xor_b32_e32 v6, s38, v6
	v_and_b32_e32 v4, v4, v7
	v_and_b32_e32 v67, v67, v6
	v_lshlrev_b32_e32 v7, 28, v65
	v_mov_b32_e32 v6, v5
	v_cmp_gt_i64_e64 s[38:39], 0, v[6:7]
	v_not_b32_e32 v6, v7
	v_ashrrev_i32_e32 v6, 31, v6
	;; [unrolled: 9-line block ×5, first 2 shown]
	v_xor_b32_e32 v7, s39, v6
	v_xor_b32_e32 v6, s38, v6
	v_and_b32_e32 v4, v4, v7
	v_lshlrev_b32_e32 v7, 24, v65
	v_and_b32_e32 v67, v67, v6
	v_mov_b32_e32 v6, v5
	v_not_b32_e32 v5, v7
	v_cmp_gt_i64_e64 s[38:39], 0, v[6:7]
	v_ashrrev_i32_e32 v5, 31, v5
	s_nop 0
	v_xor_b32_e32 v6, s39, v5
	v_xor_b32_e32 v7, s38, v5
	v_and_b32_e32 v5, v4, v6
	v_and_b32_e32 v4, v67, v7
	v_mbcnt_lo_u32_b32 v6, v4, 0
	v_mbcnt_hi_u32_b32 v65, v5, v6
	v_cmp_eq_u32_e64 s[38:39], 0, v65
	v_cmp_ne_u64_e64 s[40:41], 0, v[4:5]
	s_and_b64 s[40:41], s[40:41], s[38:39]
	; wave barrier
	s_and_saveexec_b64 s[38:39], s[40:41]
	s_cbranch_execz .LBB24_57
; %bb.56:
	v_bcnt_u32_b32 v4, v4, 0
	v_bcnt_u32_b32 v4, v5, v4
	s_waitcnt lgkmcnt(0)
	v_add_u32_e32 v4, v59, v4
	ds_write_b32 v66, v4 offset:16
.LBB24_57:
	s_or_b64 exec, exec, s[38:39]
	v_lshrrev_b32_e32 v4, s88, v57
	v_and_b32_e32 v67, s96, v4
	v_mad_u32_u24 v4, v67, 20, v36
	; wave barrier
	ds_read_b32 v57, v4 offset:16
	v_and_b32_e32 v4, 1, v67
	v_mov_b32_e32 v5, 0
	v_lshl_add_u64 v[6:7], v[4:5], 0, -1
	v_cmp_ne_u32_e64 s[38:39], 0, v4
	v_mul_u32_u24_e32 v68, 20, v67
	v_add_u32_e32 v68, v36, v68
	v_xor_b32_e32 v6, s38, v6
	v_xor_b32_e32 v4, s39, v7
	v_and_b32_e32 v69, exec_lo, v6
	v_lshlrev_b32_e32 v7, 30, v67
	v_mov_b32_e32 v6, v5
	v_cmp_gt_i64_e64 s[38:39], 0, v[6:7]
	v_not_b32_e32 v6, v7
	v_ashrrev_i32_e32 v6, 31, v6
	v_and_b32_e32 v4, exec_hi, v4
	v_xor_b32_e32 v7, s39, v6
	v_xor_b32_e32 v6, s38, v6
	v_and_b32_e32 v4, v4, v7
	v_and_b32_e32 v69, v69, v6
	v_lshlrev_b32_e32 v7, 29, v67
	v_mov_b32_e32 v6, v5
	v_cmp_gt_i64_e64 s[38:39], 0, v[6:7]
	v_not_b32_e32 v6, v7
	v_ashrrev_i32_e32 v6, 31, v6
	v_xor_b32_e32 v7, s39, v6
	v_xor_b32_e32 v6, s38, v6
	v_and_b32_e32 v4, v4, v7
	v_and_b32_e32 v69, v69, v6
	v_lshlrev_b32_e32 v7, 28, v67
	v_mov_b32_e32 v6, v5
	v_cmp_gt_i64_e64 s[38:39], 0, v[6:7]
	v_not_b32_e32 v6, v7
	v_ashrrev_i32_e32 v6, 31, v6
	;; [unrolled: 9-line block ×6, first 2 shown]
	v_xor_b32_e32 v7, s39, v6
	v_xor_b32_e32 v6, s38, v6
	v_and_b32_e32 v6, v69, v6
	v_and_b32_e32 v7, v4, v7
	v_mbcnt_lo_u32_b32 v4, v6, 0
	v_mbcnt_hi_u32_b32 v67, v7, v4
	v_cmp_eq_u32_e64 s[38:39], 0, v67
	v_cmp_ne_u64_e64 s[40:41], 0, v[6:7]
	s_and_b64 s[40:41], s[40:41], s[38:39]
	; wave barrier
	s_and_saveexec_b64 s[38:39], s[40:41]
	s_cbranch_execz .LBB24_59
; %bb.58:
	v_bcnt_u32_b32 v4, v6, 0
	v_bcnt_u32_b32 v4, v7, v4
	s_waitcnt lgkmcnt(0)
	v_add_u32_e32 v4, v57, v4
	ds_write_b32 v68, v4 offset:16
.LBB24_59:
	s_or_b64 exec, exec, s[38:39]
	v_lshrrev_b32_e32 v4, s88, v53
	v_and_b32_e32 v69, s96, v4
	v_mad_u32_u24 v4, v69, 20, v36
	; wave barrier
	ds_read_b32 v53, v4 offset:16
	v_and_b32_e32 v4, 1, v69
	v_lshl_add_u64 v[6:7], v[4:5], 0, -1
	v_cmp_ne_u32_e64 s[38:39], 0, v4
	v_mul_u32_u24_e32 v70, 20, v69
	v_add_u32_e32 v70, v36, v70
	v_xor_b32_e32 v6, s38, v6
	v_xor_b32_e32 v4, s39, v7
	v_and_b32_e32 v71, exec_lo, v6
	v_lshlrev_b32_e32 v7, 30, v69
	v_mov_b32_e32 v6, v5
	v_cmp_gt_i64_e64 s[38:39], 0, v[6:7]
	v_not_b32_e32 v6, v7
	v_ashrrev_i32_e32 v6, 31, v6
	v_and_b32_e32 v4, exec_hi, v4
	v_xor_b32_e32 v7, s39, v6
	v_xor_b32_e32 v6, s38, v6
	v_and_b32_e32 v4, v4, v7
	v_and_b32_e32 v71, v71, v6
	v_lshlrev_b32_e32 v7, 29, v69
	v_mov_b32_e32 v6, v5
	v_cmp_gt_i64_e64 s[38:39], 0, v[6:7]
	v_not_b32_e32 v6, v7
	v_ashrrev_i32_e32 v6, 31, v6
	v_xor_b32_e32 v7, s39, v6
	v_xor_b32_e32 v6, s38, v6
	v_and_b32_e32 v4, v4, v7
	v_and_b32_e32 v71, v71, v6
	v_lshlrev_b32_e32 v7, 28, v69
	v_mov_b32_e32 v6, v5
	v_cmp_gt_i64_e64 s[38:39], 0, v[6:7]
	v_not_b32_e32 v6, v7
	v_ashrrev_i32_e32 v6, 31, v6
	;; [unrolled: 9-line block ×5, first 2 shown]
	v_xor_b32_e32 v7, s39, v6
	v_xor_b32_e32 v6, s38, v6
	v_and_b32_e32 v4, v4, v7
	v_lshlrev_b32_e32 v7, 24, v69
	v_and_b32_e32 v71, v71, v6
	v_mov_b32_e32 v6, v5
	v_not_b32_e32 v5, v7
	v_cmp_gt_i64_e64 s[38:39], 0, v[6:7]
	v_ashrrev_i32_e32 v5, 31, v5
	s_nop 0
	v_xor_b32_e32 v6, s39, v5
	v_xor_b32_e32 v7, s38, v5
	v_and_b32_e32 v5, v4, v6
	v_and_b32_e32 v4, v71, v7
	v_mbcnt_lo_u32_b32 v6, v4, 0
	v_mbcnt_hi_u32_b32 v69, v5, v6
	v_cmp_eq_u32_e64 s[38:39], 0, v69
	v_cmp_ne_u64_e64 s[40:41], 0, v[4:5]
	s_and_b64 s[40:41], s[40:41], s[38:39]
	; wave barrier
	s_and_saveexec_b64 s[38:39], s[40:41]
	s_cbranch_execz .LBB24_61
; %bb.60:
	v_bcnt_u32_b32 v4, v4, 0
	v_bcnt_u32_b32 v4, v5, v4
	s_waitcnt lgkmcnt(0)
	v_add_u32_e32 v4, v53, v4
	ds_write_b32 v70, v4 offset:16
.LBB24_61:
	s_or_b64 exec, exec, s[38:39]
	v_lshrrev_b32_e32 v4, s88, v50
	v_and_b32_e32 v71, s96, v4
	v_mad_u32_u24 v4, v71, 20, v36
	; wave barrier
	ds_read_b32 v50, v4 offset:16
	v_and_b32_e32 v4, 1, v71
	v_mov_b32_e32 v5, 0
	v_lshl_add_u64 v[6:7], v[4:5], 0, -1
	v_cmp_ne_u32_e64 s[38:39], 0, v4
	v_mul_u32_u24_e32 v72, 20, v71
	v_add_u32_e32 v72, v36, v72
	v_xor_b32_e32 v6, s38, v6
	v_xor_b32_e32 v4, s39, v7
	v_and_b32_e32 v73, exec_lo, v6
	v_lshlrev_b32_e32 v7, 30, v71
	v_mov_b32_e32 v6, v5
	v_cmp_gt_i64_e64 s[38:39], 0, v[6:7]
	v_not_b32_e32 v6, v7
	v_ashrrev_i32_e32 v6, 31, v6
	v_and_b32_e32 v4, exec_hi, v4
	v_xor_b32_e32 v7, s39, v6
	v_xor_b32_e32 v6, s38, v6
	v_and_b32_e32 v4, v4, v7
	v_and_b32_e32 v73, v73, v6
	v_lshlrev_b32_e32 v7, 29, v71
	v_mov_b32_e32 v6, v5
	v_cmp_gt_i64_e64 s[38:39], 0, v[6:7]
	v_not_b32_e32 v6, v7
	v_ashrrev_i32_e32 v6, 31, v6
	v_xor_b32_e32 v7, s39, v6
	v_xor_b32_e32 v6, s38, v6
	v_and_b32_e32 v4, v4, v7
	v_and_b32_e32 v73, v73, v6
	v_lshlrev_b32_e32 v7, 28, v71
	v_mov_b32_e32 v6, v5
	v_cmp_gt_i64_e64 s[38:39], 0, v[6:7]
	v_not_b32_e32 v6, v7
	v_ashrrev_i32_e32 v6, 31, v6
	;; [unrolled: 9-line block ×6, first 2 shown]
	v_xor_b32_e32 v7, s39, v6
	v_xor_b32_e32 v6, s38, v6
	v_and_b32_e32 v6, v73, v6
	v_and_b32_e32 v7, v4, v7
	v_mbcnt_lo_u32_b32 v4, v6, 0
	v_mbcnt_hi_u32_b32 v71, v7, v4
	v_cmp_eq_u32_e64 s[38:39], 0, v71
	v_cmp_ne_u64_e64 s[40:41], 0, v[6:7]
	s_and_b64 s[40:41], s[40:41], s[38:39]
	; wave barrier
	s_and_saveexec_b64 s[38:39], s[40:41]
	s_cbranch_execz .LBB24_63
; %bb.62:
	v_bcnt_u32_b32 v4, v6, 0
	v_bcnt_u32_b32 v4, v7, v4
	s_waitcnt lgkmcnt(0)
	v_add_u32_e32 v4, v50, v4
	ds_write_b32 v72, v4 offset:16
.LBB24_63:
	s_or_b64 exec, exec, s[38:39]
	v_lshrrev_b32_e32 v4, s88, v46
	v_and_b32_e32 v73, s96, v4
	v_mad_u32_u24 v4, v73, 20, v36
	; wave barrier
	ds_read_b32 v46, v4 offset:16
	v_and_b32_e32 v4, 1, v73
	v_lshl_add_u64 v[6:7], v[4:5], 0, -1
	v_cmp_ne_u32_e64 s[38:39], 0, v4
	v_mul_u32_u24_e32 v74, 20, v73
	s_nop 0
	v_xor_b32_e32 v6, s38, v6
	v_xor_b32_e32 v4, s39, v7
	v_and_b32_e32 v75, exec_lo, v6
	v_lshlrev_b32_e32 v7, 30, v73
	v_mov_b32_e32 v6, v5
	v_cmp_gt_i64_e64 s[38:39], 0, v[6:7]
	v_not_b32_e32 v6, v7
	v_ashrrev_i32_e32 v6, 31, v6
	v_and_b32_e32 v4, exec_hi, v4
	v_xor_b32_e32 v7, s39, v6
	v_xor_b32_e32 v6, s38, v6
	v_and_b32_e32 v4, v4, v7
	v_and_b32_e32 v75, v75, v6
	v_lshlrev_b32_e32 v7, 29, v73
	v_mov_b32_e32 v6, v5
	v_cmp_gt_i64_e64 s[38:39], 0, v[6:7]
	v_not_b32_e32 v6, v7
	v_ashrrev_i32_e32 v6, 31, v6
	v_xor_b32_e32 v7, s39, v6
	v_xor_b32_e32 v6, s38, v6
	v_and_b32_e32 v4, v4, v7
	v_and_b32_e32 v75, v75, v6
	v_lshlrev_b32_e32 v7, 28, v73
	v_mov_b32_e32 v6, v5
	v_cmp_gt_i64_e64 s[38:39], 0, v[6:7]
	v_not_b32_e32 v6, v7
	v_ashrrev_i32_e32 v6, 31, v6
	;; [unrolled: 9-line block ×5, first 2 shown]
	v_xor_b32_e32 v7, s39, v6
	v_xor_b32_e32 v6, s38, v6
	v_and_b32_e32 v4, v4, v7
	v_lshlrev_b32_e32 v7, 24, v73
	v_and_b32_e32 v75, v75, v6
	v_mov_b32_e32 v6, v5
	v_not_b32_e32 v5, v7
	v_cmp_gt_i64_e64 s[38:39], 0, v[6:7]
	v_ashrrev_i32_e32 v5, 31, v5
	; wave barrier
	s_nop 0
	v_xor_b32_e32 v6, s39, v5
	v_xor_b32_e32 v7, s38, v5
	v_and_b32_e32 v5, v4, v6
	v_and_b32_e32 v4, v75, v7
	v_mbcnt_lo_u32_b32 v6, v4, 0
	v_mbcnt_hi_u32_b32 v73, v5, v6
	v_cmp_eq_u32_e64 s[38:39], 0, v73
	v_cmp_ne_u64_e64 s[40:41], 0, v[4:5]
	s_and_b64 s[40:41], s[40:41], s[38:39]
	v_add_u32_e32 v75, v36, v74
	s_and_saveexec_b64 s[38:39], s[40:41]
	s_cbranch_execz .LBB24_65
; %bb.64:
	v_bcnt_u32_b32 v4, v4, 0
	v_bcnt_u32_b32 v4, v5, v4
	s_waitcnt lgkmcnt(0)
	v_add_u32_e32 v4, v46, v4
	ds_write_b32 v75, v4 offset:16
.LBB24_65:
	s_or_b64 exec, exec, s[38:39]
	v_lshrrev_b32_e32 v4, s88, v42
	v_and_b32_e32 v42, s96, v4
	v_mad_u32_u24 v4, v42, 20, v36
	; wave barrier
	ds_read_b32 v74, v4 offset:16
	v_and_b32_e32 v4, 1, v42
	v_mov_b32_e32 v5, 0
	v_lshl_add_u64 v[6:7], v[4:5], 0, -1
	v_cmp_ne_u32_e64 s[38:39], 0, v4
	v_mul_u32_u24_e32 v77, 20, v42
	s_nop 0
	v_xor_b32_e32 v6, s38, v6
	v_xor_b32_e32 v4, s39, v7
	v_and_b32_e32 v76, exec_lo, v6
	v_lshlrev_b32_e32 v7, 30, v42
	v_mov_b32_e32 v6, v5
	v_cmp_gt_i64_e64 s[38:39], 0, v[6:7]
	v_not_b32_e32 v6, v7
	v_ashrrev_i32_e32 v6, 31, v6
	v_and_b32_e32 v4, exec_hi, v4
	v_xor_b32_e32 v7, s39, v6
	v_xor_b32_e32 v6, s38, v6
	v_and_b32_e32 v4, v4, v7
	v_and_b32_e32 v76, v76, v6
	v_lshlrev_b32_e32 v7, 29, v42
	v_mov_b32_e32 v6, v5
	v_cmp_gt_i64_e64 s[38:39], 0, v[6:7]
	v_not_b32_e32 v6, v7
	v_ashrrev_i32_e32 v6, 31, v6
	v_xor_b32_e32 v7, s39, v6
	v_xor_b32_e32 v6, s38, v6
	v_and_b32_e32 v4, v4, v7
	v_and_b32_e32 v76, v76, v6
	v_lshlrev_b32_e32 v7, 28, v42
	v_mov_b32_e32 v6, v5
	v_cmp_gt_i64_e64 s[38:39], 0, v[6:7]
	v_not_b32_e32 v6, v7
	v_ashrrev_i32_e32 v6, 31, v6
	;; [unrolled: 9-line block ×6, first 2 shown]
	v_xor_b32_e32 v7, s39, v6
	v_xor_b32_e32 v6, s38, v6
	v_and_b32_e32 v6, v76, v6
	v_and_b32_e32 v7, v4, v7
	v_mbcnt_lo_u32_b32 v4, v6, 0
	v_mbcnt_hi_u32_b32 v76, v7, v4
	v_cmp_eq_u32_e64 s[38:39], 0, v76
	v_cmp_ne_u64_e64 s[40:41], 0, v[6:7]
	s_and_b64 s[40:41], s[40:41], s[38:39]
	v_add_u32_e32 v42, v36, v77
	; wave barrier
	s_and_saveexec_b64 s[38:39], s[40:41]
	s_cbranch_execz .LBB24_67
; %bb.66:
	v_bcnt_u32_b32 v4, v6, 0
	v_bcnt_u32_b32 v4, v7, v4
	s_waitcnt lgkmcnt(0)
	v_add_u32_e32 v4, v74, v4
	ds_write_b32 v42, v4 offset:16
.LBB24_67:
	s_or_b64 exec, exec, s[38:39]
	v_lshrrev_b32_e32 v4, s88, v38
	v_and_b32_e32 v38, s96, v4
	v_mad_u32_u24 v4, v38, 20, v36
	; wave barrier
	ds_read_b32 v77, v4 offset:16
	v_and_b32_e32 v4, 1, v38
	v_lshl_add_u64 v[6:7], v[4:5], 0, -1
	v_cmp_ne_u32_e64 s[38:39], 0, v4
	v_mul_u32_u24_e32 v79, 20, v38
	s_nop 0
	v_xor_b32_e32 v6, s38, v6
	v_xor_b32_e32 v4, s39, v7
	v_and_b32_e32 v78, exec_lo, v6
	v_lshlrev_b32_e32 v7, 30, v38
	v_mov_b32_e32 v6, v5
	v_cmp_gt_i64_e64 s[38:39], 0, v[6:7]
	v_not_b32_e32 v6, v7
	v_ashrrev_i32_e32 v6, 31, v6
	v_and_b32_e32 v4, exec_hi, v4
	v_xor_b32_e32 v7, s39, v6
	v_xor_b32_e32 v6, s38, v6
	v_and_b32_e32 v4, v4, v7
	v_and_b32_e32 v78, v78, v6
	v_lshlrev_b32_e32 v7, 29, v38
	v_mov_b32_e32 v6, v5
	v_cmp_gt_i64_e64 s[38:39], 0, v[6:7]
	v_not_b32_e32 v6, v7
	v_ashrrev_i32_e32 v6, 31, v6
	v_xor_b32_e32 v7, s39, v6
	v_xor_b32_e32 v6, s38, v6
	v_and_b32_e32 v4, v4, v7
	v_and_b32_e32 v78, v78, v6
	v_lshlrev_b32_e32 v7, 28, v38
	v_mov_b32_e32 v6, v5
	v_cmp_gt_i64_e64 s[38:39], 0, v[6:7]
	v_not_b32_e32 v6, v7
	v_ashrrev_i32_e32 v6, 31, v6
	v_xor_b32_e32 v7, s39, v6
	v_xor_b32_e32 v6, s38, v6
	v_and_b32_e32 v4, v4, v7
	v_and_b32_e32 v78, v78, v6
	v_lshlrev_b32_e32 v7, 27, v38
	v_mov_b32_e32 v6, v5
	v_cmp_gt_i64_e64 s[38:39], 0, v[6:7]
	v_not_b32_e32 v6, v7
	v_ashrrev_i32_e32 v6, 31, v6
	v_xor_b32_e32 v7, s39, v6
	v_xor_b32_e32 v6, s38, v6
	v_and_b32_e32 v4, v4, v7
	v_and_b32_e32 v78, v78, v6
	v_lshlrev_b32_e32 v7, 26, v38
	v_mov_b32_e32 v6, v5
	v_cmp_gt_i64_e64 s[38:39], 0, v[6:7]
	v_not_b32_e32 v6, v7
	v_ashrrev_i32_e32 v6, 31, v6
	v_xor_b32_e32 v7, s39, v6
	v_xor_b32_e32 v6, s38, v6
	v_and_b32_e32 v4, v4, v7
	v_and_b32_e32 v78, v78, v6
	v_lshlrev_b32_e32 v7, 25, v38
	v_mov_b32_e32 v6, v5
	v_cmp_gt_i64_e64 s[38:39], 0, v[6:7]
	v_not_b32_e32 v6, v7
	v_ashrrev_i32_e32 v6, 31, v6
	v_xor_b32_e32 v7, s39, v6
	v_xor_b32_e32 v6, s38, v6
	v_and_b32_e32 v4, v4, v7
	v_lshlrev_b32_e32 v7, 24, v38
	v_and_b32_e32 v78, v78, v6
	v_mov_b32_e32 v6, v5
	v_not_b32_e32 v5, v7
	v_cmp_gt_i64_e64 s[38:39], 0, v[6:7]
	v_ashrrev_i32_e32 v5, 31, v5
	v_add_u32_e32 v38, v36, v79
	v_xor_b32_e32 v6, s39, v5
	v_xor_b32_e32 v7, s38, v5
	v_and_b32_e32 v5, v4, v6
	v_and_b32_e32 v4, v78, v7
	v_mbcnt_lo_u32_b32 v6, v4, 0
	v_mbcnt_hi_u32_b32 v78, v5, v6
	v_cmp_eq_u32_e64 s[38:39], 0, v78
	v_cmp_ne_u64_e64 s[40:41], 0, v[4:5]
	s_and_b64 s[40:41], s[40:41], s[38:39]
	; wave barrier
	s_and_saveexec_b64 s[38:39], s[40:41]
	s_cbranch_execz .LBB24_69
; %bb.68:
	v_bcnt_u32_b32 v4, v4, 0
	v_bcnt_u32_b32 v4, v5, v4
	s_waitcnt lgkmcnt(0)
	v_add_u32_e32 v4, v77, v4
	ds_write_b32 v38, v4 offset:16
.LBB24_69:
	s_or_b64 exec, exec, s[38:39]
	v_lshrrev_b32_e32 v4, s88, v35
	v_and_b32_e32 v35, s96, v4
	v_mad_u32_u24 v4, v35, 20, v36
	; wave barrier
	ds_read_b32 v79, v4 offset:16
	v_and_b32_e32 v4, 1, v35
	v_mov_b32_e32 v5, 0
	v_lshl_add_u64 v[6:7], v[4:5], 0, -1
	v_cmp_ne_u32_e64 s[38:39], 0, v4
	v_mul_u32_u24_e32 v81, 20, v35
	s_nop 0
	v_xor_b32_e32 v6, s38, v6
	v_xor_b32_e32 v4, s39, v7
	v_and_b32_e32 v80, exec_lo, v6
	v_lshlrev_b32_e32 v7, 30, v35
	v_mov_b32_e32 v6, v5
	v_cmp_gt_i64_e64 s[38:39], 0, v[6:7]
	v_not_b32_e32 v6, v7
	v_ashrrev_i32_e32 v6, 31, v6
	v_and_b32_e32 v4, exec_hi, v4
	v_xor_b32_e32 v7, s39, v6
	v_xor_b32_e32 v6, s38, v6
	v_and_b32_e32 v4, v4, v7
	v_and_b32_e32 v80, v80, v6
	v_lshlrev_b32_e32 v7, 29, v35
	v_mov_b32_e32 v6, v5
	v_cmp_gt_i64_e64 s[38:39], 0, v[6:7]
	v_not_b32_e32 v6, v7
	v_ashrrev_i32_e32 v6, 31, v6
	v_xor_b32_e32 v7, s39, v6
	v_xor_b32_e32 v6, s38, v6
	v_and_b32_e32 v4, v4, v7
	v_and_b32_e32 v80, v80, v6
	v_lshlrev_b32_e32 v7, 28, v35
	v_mov_b32_e32 v6, v5
	v_cmp_gt_i64_e64 s[38:39], 0, v[6:7]
	v_not_b32_e32 v6, v7
	v_ashrrev_i32_e32 v6, 31, v6
	;; [unrolled: 9-line block ×6, first 2 shown]
	v_xor_b32_e32 v7, s39, v6
	v_xor_b32_e32 v6, s38, v6
	v_and_b32_e32 v6, v80, v6
	v_and_b32_e32 v7, v4, v7
	v_mbcnt_lo_u32_b32 v4, v6, 0
	v_mbcnt_hi_u32_b32 v80, v7, v4
	v_cmp_eq_u32_e64 s[38:39], 0, v80
	v_cmp_ne_u64_e64 s[40:41], 0, v[6:7]
	s_and_b64 s[40:41], s[40:41], s[38:39]
	v_add_u32_e32 v35, v36, v81
	; wave barrier
	s_and_saveexec_b64 s[38:39], s[40:41]
	s_cbranch_execz .LBB24_71
; %bb.70:
	v_bcnt_u32_b32 v4, v6, 0
	v_bcnt_u32_b32 v4, v7, v4
	s_waitcnt lgkmcnt(0)
	v_add_u32_e32 v4, v79, v4
	ds_write_b32 v35, v4 offset:16
.LBB24_71:
	s_or_b64 exec, exec, s[38:39]
	v_lshrrev_b32_e32 v4, s88, v31
	v_and_b32_e32 v31, s96, v4
	v_mad_u32_u24 v4, v31, 20, v36
	; wave barrier
	ds_read_b32 v81, v4 offset:16
	v_and_b32_e32 v4, 1, v31
	v_lshl_add_u64 v[6:7], v[4:5], 0, -1
	v_cmp_ne_u32_e64 s[38:39], 0, v4
	v_mul_u32_u24_e32 v83, 20, v31
	s_nop 0
	v_xor_b32_e32 v6, s38, v6
	v_xor_b32_e32 v4, s39, v7
	v_and_b32_e32 v82, exec_lo, v6
	v_lshlrev_b32_e32 v7, 30, v31
	v_mov_b32_e32 v6, v5
	v_cmp_gt_i64_e64 s[38:39], 0, v[6:7]
	v_not_b32_e32 v6, v7
	v_ashrrev_i32_e32 v6, 31, v6
	v_and_b32_e32 v4, exec_hi, v4
	v_xor_b32_e32 v7, s39, v6
	v_xor_b32_e32 v6, s38, v6
	v_and_b32_e32 v4, v4, v7
	v_and_b32_e32 v82, v82, v6
	v_lshlrev_b32_e32 v7, 29, v31
	v_mov_b32_e32 v6, v5
	v_cmp_gt_i64_e64 s[38:39], 0, v[6:7]
	v_not_b32_e32 v6, v7
	v_ashrrev_i32_e32 v6, 31, v6
	v_xor_b32_e32 v7, s39, v6
	v_xor_b32_e32 v6, s38, v6
	v_and_b32_e32 v4, v4, v7
	v_and_b32_e32 v82, v82, v6
	v_lshlrev_b32_e32 v7, 28, v31
	v_mov_b32_e32 v6, v5
	v_cmp_gt_i64_e64 s[38:39], 0, v[6:7]
	v_not_b32_e32 v6, v7
	v_ashrrev_i32_e32 v6, 31, v6
	;; [unrolled: 9-line block ×5, first 2 shown]
	v_xor_b32_e32 v7, s39, v6
	v_xor_b32_e32 v6, s38, v6
	v_and_b32_e32 v4, v4, v7
	v_lshlrev_b32_e32 v7, 24, v31
	v_and_b32_e32 v82, v82, v6
	v_mov_b32_e32 v6, v5
	v_not_b32_e32 v5, v7
	v_cmp_gt_i64_e64 s[38:39], 0, v[6:7]
	v_ashrrev_i32_e32 v5, 31, v5
	v_add_u32_e32 v31, v36, v83
	v_xor_b32_e32 v6, s39, v5
	v_xor_b32_e32 v7, s38, v5
	v_and_b32_e32 v5, v4, v6
	v_and_b32_e32 v4, v82, v7
	v_mbcnt_lo_u32_b32 v6, v4, 0
	v_mbcnt_hi_u32_b32 v82, v5, v6
	v_cmp_eq_u32_e64 s[38:39], 0, v82
	v_cmp_ne_u64_e64 s[40:41], 0, v[4:5]
	s_and_b64 s[40:41], s[40:41], s[38:39]
	; wave barrier
	s_and_saveexec_b64 s[38:39], s[40:41]
	s_cbranch_execz .LBB24_73
; %bb.72:
	v_bcnt_u32_b32 v4, v4, 0
	v_bcnt_u32_b32 v4, v5, v4
	s_waitcnt lgkmcnt(0)
	v_add_u32_e32 v4, v81, v4
	ds_write_b32 v31, v4 offset:16
.LBB24_73:
	s_or_b64 exec, exec, s[38:39]
	; wave barrier
	s_waitcnt lgkmcnt(0)
	s_barrier
	ds_read2_b32 v[6:7], v28 offset0:4 offset1:5
	ds_read2_b32 v[4:5], v28 offset0:6 offset1:7
	ds_read_b32 v36, v28 offset:32
	v_min_u32_e32 v17, 0xc0, v17
	v_or_b32_e32 v17, 63, v17
	s_waitcnt lgkmcnt(1)
	v_add3_u32 v83, v7, v6, v4
	s_waitcnt lgkmcnt(0)
	v_add3_u32 v36, v83, v5, v36
	v_and_b32_e32 v83, 15, v3
	v_cmp_ne_u32_e64 s[38:39], 0, v83
	v_mov_b32_dpp v84, v36 row_shr:1 row_mask:0xf bank_mask:0xf
	s_nop 0
	v_cndmask_b32_e64 v84, 0, v84, s[38:39]
	v_add_u32_e32 v36, v84, v36
	v_cmp_lt_u32_e64 s[38:39], 1, v83
	s_nop 0
	v_mov_b32_dpp v84, v36 row_shr:2 row_mask:0xf bank_mask:0xf
	v_cndmask_b32_e64 v84, 0, v84, s[38:39]
	v_add_u32_e32 v36, v36, v84
	v_cmp_lt_u32_e64 s[38:39], 3, v83
	s_nop 0
	v_mov_b32_dpp v84, v36 row_shr:4 row_mask:0xf bank_mask:0xf
	v_cndmask_b32_e64 v84, 0, v84, s[38:39]
	v_add_u32_e32 v36, v36, v84
	v_cmp_lt_u32_e64 s[38:39], 7, v83
	s_nop 0
	v_mov_b32_dpp v84, v36 row_shr:8 row_mask:0xf bank_mask:0xf
	v_cndmask_b32_e64 v83, 0, v84, s[38:39]
	v_add_u32_e32 v36, v36, v83
	v_bfe_i32 v84, v3, 4, 1
	v_cmp_lt_u32_e64 s[38:39], 31, v3
	v_mov_b32_dpp v83, v36 row_bcast:15 row_mask:0xf bank_mask:0xf
	v_and_b32_e32 v83, v84, v83
	v_add_u32_e32 v36, v36, v83
	s_nop 1
	v_mov_b32_dpp v83, v36 row_bcast:31 row_mask:0xf bank_mask:0xf
	v_cndmask_b32_e64 v83, 0, v83, s[38:39]
	v_add_u32_e32 v36, v36, v83
	v_lshrrev_b32_e32 v83, 6, v2
	v_cmp_eq_u32_e64 s[38:39], v2, v17
	s_and_saveexec_b64 s[40:41], s[38:39]
; %bb.74:
	v_lshlrev_b32_e32 v17, 2, v83
	ds_write_b32 v17, v36
; %bb.75:
	s_or_b64 exec, exec, s[40:41]
	v_cmp_gt_u32_e64 s[38:39], 4, v2
	s_waitcnt lgkmcnt(0)
	s_barrier
	s_and_saveexec_b64 s[40:41], s[38:39]
	s_cbranch_execz .LBB24_77
; %bb.76:
	v_lshlrev_b32_e32 v17, 2, v2
	ds_read_b32 v84, v17
	v_and_b32_e32 v85, 3, v3
	v_cmp_ne_u32_e64 s[38:39], 0, v85
	s_waitcnt lgkmcnt(0)
	v_mov_b32_dpp v86, v84 row_shr:1 row_mask:0xf bank_mask:0xf
	v_cndmask_b32_e64 v86, 0, v86, s[38:39]
	v_add_u32_e32 v84, v86, v84
	v_cmp_lt_u32_e64 s[38:39], 1, v85
	s_nop 0
	v_mov_b32_dpp v86, v84 row_shr:2 row_mask:0xf bank_mask:0xf
	v_cndmask_b32_e64 v85, 0, v86, s[38:39]
	v_add_u32_e32 v84, v84, v85
	ds_write_b32 v17, v84
.LBB24_77:
	s_or_b64 exec, exec, s[40:41]
	v_cmp_lt_u32_e64 s[38:39], 63, v2
	v_mov_b32_e32 v17, 0
	s_waitcnt lgkmcnt(0)
	s_barrier
	s_and_saveexec_b64 s[40:41], s[38:39]
; %bb.78:
	v_lshl_add_u32 v17, v83, 2, -4
	ds_read_b32 v17, v17
; %bb.79:
	s_or_b64 exec, exec, s[40:41]
	v_add_u32_e32 v83, -1, v3
	v_and_b32_e32 v84, 64, v3
	v_cmp_lt_i32_e64 s[38:39], v83, v84
	s_waitcnt lgkmcnt(0)
	v_add_u32_e32 v36, v17, v36
	v_cndmask_b32_e64 v83, v83, v3, s[38:39]
	v_lshlrev_b32_e32 v83, 2, v83
	ds_bpermute_b32 v36, v83, v36
	v_cmp_eq_u32_e64 s[38:39], 0, v3
	s_waitcnt lgkmcnt(0)
	s_nop 0
	v_cndmask_b32_e64 v17, v36, v17, s[38:39]
	v_cmp_ne_u32_e64 s[38:39], 0, v2
	s_nop 1
	v_cndmask_b32_e64 v17, 0, v17, s[38:39]
	v_add_u32_e32 v6, v17, v6
	v_add_u32_e32 v7, v6, v7
	;; [unrolled: 1-line block ×4, first 2 shown]
	ds_write2_b32 v28, v17, v6 offset0:4 offset1:5
	ds_write2_b32 v28, v7, v4 offset0:6 offset1:7
	ds_write_b32 v28, v5 offset:32
	s_waitcnt lgkmcnt(0)
	s_barrier
	ds_read_b32 v6, v32 offset:16
	ds_read_b32 v7, v37 offset:16
	;; [unrolled: 1-line block ×19, first 2 shown]
	v_add_u32_e32 v28, 1, v2
	s_movk_i32 s38, 0x100
	v_cmp_ne_u32_e64 s[38:39], s38, v28
	v_mov_b32_e32 v5, 0x1200
	s_and_saveexec_b64 s[40:41], s[38:39]
; %bb.80:
	v_mul_u32_u24_e32 v5, 20, v28
	ds_read_b32 v5, v5 offset:16
; %bb.81:
	s_or_b64 exec, exec, s[40:41]
	s_waitcnt lgkmcnt(14)
	v_add_u32_e32 v45, v6, v29
	v_add3_u32 v42, v33, v30, v7
	v_lshlrev_b32_e32 v6, 1, v45
	v_add3_u32 v41, v39, v34, v17
	s_waitcnt lgkmcnt(0)
	s_barrier
	ds_write_b16 v6, v9 offset:2048
	v_lshlrev_b32_e32 v6, 1, v42
	v_add3_u32 v40, v43, v40, v32
	ds_write_b16 v6, v8 offset:2048
	v_lshlrev_b32_e32 v6, 1, v41
	v_add3_u32 v39, v47, v44, v36
	;; [unrolled: 3-line block ×15, first 2 shown]
	ds_write_b16 v6, v24 offset:2048
	v_lshlrev_b32_e32 v6, 1, v17
	ds_write_b16 v6, v27 offset:2048
	v_lshlrev_b32_e32 v6, 1, v7
	ds_write_b16 v6, v26 offset:2048
	v_sub_u32_e32 v6, v5, v4
	v_lshl_add_u32 v8, s2, 8, v2
	v_mov_b32_e32 v9, 0
	v_lshl_add_u64 v[10:11], v[8:9], 2, s[94:95]
	v_or_b32_e32 v5, 2.0, v6
	s_mov_b64 s[40:41], 0
	s_brev_b32 s46, -4
	s_mov_b32 s47, s3
	v_mov_b32_e32 v15, 0
	s_waitcnt lgkmcnt(0)
	s_barrier
	global_store_dword v[10:11], v5, off sc1
                                        ; implicit-def: $sgpr38_sgpr39
	s_branch .LBB24_84
.LBB24_82:                              ;   in Loop: Header=BB24_84 Depth=1
	s_or_b64 exec, exec, s[44:45]
.LBB24_83:                              ;   in Loop: Header=BB24_84 Depth=1
	s_or_b64 exec, exec, s[42:43]
	v_and_b32_e32 v8, 0x3fffffff, v5
	v_add_u32_e32 v15, v8, v15
	v_cmp_gt_i32_e64 s[38:39], -2.0, v5
	s_and_b64 s[42:43], exec, s[38:39]
	s_or_b64 s[40:41], s[42:43], s[40:41]
	s_andn2_b64 exec, exec, s[40:41]
	s_cbranch_execz .LBB24_89
.LBB24_84:                              ; =>This Loop Header: Depth=1
                                        ;     Child Loop BB24_87 Depth 2
	s_or_b64 s[38:39], s[38:39], exec
	s_cmp_eq_u32 s47, 0
	s_cbranch_scc1 .LBB24_88
; %bb.85:                               ;   in Loop: Header=BB24_84 Depth=1
	s_add_i32 s47, s47, -1
	v_lshl_add_u32 v8, s47, 8, v2
	v_lshl_add_u64 v[12:13], v[8:9], 2, s[94:95]
	global_load_dword v5, v[12:13], off sc1
	s_waitcnt vmcnt(0)
	v_cmp_gt_u32_e64 s[38:39], 2.0, v5
	s_and_saveexec_b64 s[42:43], s[38:39]
	s_cbranch_execz .LBB24_83
; %bb.86:                               ;   in Loop: Header=BB24_84 Depth=1
	s_mov_b64 s[44:45], 0
.LBB24_87:                              ;   Parent Loop BB24_84 Depth=1
                                        ; =>  This Inner Loop Header: Depth=2
	global_load_dword v5, v[12:13], off sc1
	s_waitcnt vmcnt(0)
	v_cmp_lt_u32_e64 s[38:39], s46, v5
	s_or_b64 s[44:45], s[38:39], s[44:45]
	s_andn2_b64 exec, exec, s[44:45]
	s_cbranch_execnz .LBB24_87
	s_branch .LBB24_82
.LBB24_88:                              ;   in Loop: Header=BB24_84 Depth=1
                                        ; implicit-def: $sgpr47
	s_and_b64 s[42:43], exec, s[38:39]
	s_or_b64 s[40:41], s[42:43], s[40:41]
	s_andn2_b64 exec, exec, s[40:41]
	s_cbranch_execnz .LBB24_84
.LBB24_89:
	s_or_b64 exec, exec, s[40:41]
	v_add_u32_e32 v5, v15, v6
	v_or_b32_e32 v5, 0x80000000, v5
	v_lshlrev_b32_e32 v8, 3, v2
	global_store_dword v[10:11], v5, off sc1
	global_load_dwordx2 v[10:11], v8, s[84:85]
	v_sub_co_u32_e64 v12, s[38:39], v15, v4
	v_mov_b32_e32 v5, 0
	s_nop 0
	v_subb_co_u32_e64 v13, s[38:39], 0, 0, s[38:39]
	v_cmp_gt_u32_e64 s[38:39], s90, v2
	s_waitcnt vmcnt(0)
	v_lshl_add_u64 v[10:11], v[12:13], 0, v[10:11]
	ds_write_b64 v8, v[10:11]
	s_waitcnt lgkmcnt(0)
	s_barrier
	s_and_saveexec_b64 s[40:41], s[38:39]
	s_cbranch_execz .LBB24_91
; %bb.90:
	v_mad_i32_i24 v9, v2, -6, v8
	ds_read_u16 v9, v9 offset:2048
	v_lshlrev_b32_e32 v12, 1, v2
	v_mov_b32_e32 v13, v5
	s_waitcnt lgkmcnt(0)
	v_lshrrev_b32_sdwa v10, s88, v9 dst_sel:DWORD dst_unused:UNUSED_PAD src0_sel:DWORD src1_sel:WORD_0
	v_and_b32_e32 v10, s96, v10
	v_lshlrev_b32_e32 v10, 3, v10
	ds_read_b64 v[10:11], v10
	s_waitcnt lgkmcnt(0)
	v_lshl_add_u64 v[10:11], v[10:11], 1, s[78:79]
	v_lshl_add_u64 v[10:11], v[10:11], 0, v[12:13]
	global_store_short v[10:11], v9, off
.LBB24_91:
	s_or_b64 exec, exec, s[40:41]
	v_add_u32_e32 v9, 0x100, v2
	v_cmp_gt_u32_e64 s[40:41], s90, v9
	s_and_saveexec_b64 s[42:43], s[40:41]
	s_cbranch_execz .LBB24_93
; %bb.92:
	v_mad_i32_i24 v9, v2, -6, v8
	ds_read_u16 v9, v9 offset:2560
	v_lshlrev_b32_e32 v12, 1, v2
	v_mov_b32_e32 v13, 0
	s_waitcnt lgkmcnt(0)
	v_lshrrev_b32_sdwa v10, s88, v9 dst_sel:DWORD dst_unused:UNUSED_PAD src0_sel:DWORD src1_sel:WORD_0
	v_and_b32_e32 v10, s96, v10
	v_lshlrev_b32_e32 v10, 3, v10
	ds_read_b64 v[10:11], v10
	s_waitcnt lgkmcnt(0)
	v_lshl_add_u64 v[10:11], v[10:11], 1, s[78:79]
	v_lshl_add_u64 v[10:11], v[10:11], 0, v[12:13]
	global_store_short v[10:11], v9, off offset:512
.LBB24_93:
	s_or_b64 exec, exec, s[42:43]
	v_add_u32_e32 v12, 0x200, v2
	v_cmp_gt_u32_e64 s[42:43], s90, v12
	s_and_saveexec_b64 s[44:45], s[42:43]
	s_cbranch_execz .LBB24_95
; %bb.94:
	v_mad_i32_i24 v9, v2, -6, v8
	ds_read_u16 v9, v9 offset:3072
	v_lshlrev_b32_e32 v18, 1, v2
	v_mov_b32_e32 v19, 0
	s_waitcnt lgkmcnt(0)
	v_lshrrev_b32_sdwa v10, s88, v9 dst_sel:DWORD dst_unused:UNUSED_PAD src0_sel:DWORD src1_sel:WORD_0
	v_and_b32_e32 v10, s96, v10
	v_lshlrev_b32_e32 v10, 3, v10
	ds_read_b64 v[10:11], v10
	s_waitcnt lgkmcnt(0)
	v_lshl_add_u64 v[10:11], v[10:11], 1, s[78:79]
	v_lshl_add_u64 v[10:11], v[10:11], 0, v[18:19]
	global_store_short v[10:11], v9, off offset:1024
.LBB24_95:
	;; [unrolled: 20-line block ×3, first 2 shown]
	s_or_b64 exec, exec, s[46:47]
	v_or_b32_e32 v15, 0x400, v2
	v_cmp_gt_u32_e64 s[46:47], s90, v15
	s_and_saveexec_b64 s[48:49], s[46:47]
	s_cbranch_execz .LBB24_99
; %bb.98:
	v_mad_i32_i24 v9, v2, -6, v8
	ds_read_u16 v9, v9 offset:4096
	v_lshlrev_b32_e32 v18, 1, v2
	v_mov_b32_e32 v19, 0
	s_waitcnt lgkmcnt(0)
	v_lshrrev_b32_sdwa v10, s88, v9 dst_sel:DWORD dst_unused:UNUSED_PAD src0_sel:DWORD src1_sel:WORD_0
	v_and_b32_e32 v10, s96, v10
	v_lshlrev_b32_e32 v10, 3, v10
	ds_read_b64 v[10:11], v10
	s_waitcnt lgkmcnt(0)
	v_lshl_add_u64 v[10:11], v[10:11], 1, s[78:79]
	v_lshl_add_u64 v[10:11], v[10:11], 0, v[18:19]
	global_store_short v[10:11], v9, off offset:2048
.LBB24_99:
	s_or_b64 exec, exec, s[48:49]
	v_add_u32_e32 v16, 0x500, v2
	v_cmp_gt_u32_e64 s[48:49], s90, v16
	s_and_saveexec_b64 s[50:51], s[48:49]
	s_cbranch_execz .LBB24_101
; %bb.100:
	v_mad_i32_i24 v9, v2, -6, v8
	ds_read_u16 v9, v9 offset:4608
	v_lshlrev_b32_e32 v18, 1, v2
	v_mov_b32_e32 v19, 0
	s_waitcnt lgkmcnt(0)
	v_lshrrev_b32_sdwa v10, s88, v9 dst_sel:DWORD dst_unused:UNUSED_PAD src0_sel:DWORD src1_sel:WORD_0
	v_and_b32_e32 v10, s96, v10
	v_lshlrev_b32_e32 v10, 3, v10
	ds_read_b64 v[10:11], v10
	s_waitcnt lgkmcnt(0)
	v_lshl_add_u64 v[10:11], v[10:11], 1, s[78:79]
	v_lshl_add_u64 v[10:11], v[10:11], 0, v[18:19]
	global_store_short v[10:11], v9, off offset:2560
.LBB24_101:
	s_or_b64 exec, exec, s[50:51]
	v_add_u32_e32 v18, 0x600, v2
	;; [unrolled: 20-line block ×3, first 2 shown]
	v_cmp_gt_u32_e64 s[52:53], s90, v19
	s_and_saveexec_b64 s[54:55], s[52:53]
	s_cbranch_execz .LBB24_105
; %bb.104:
	v_lshlrev_b32_e32 v10, 1, v2
	ds_read_u16 v9, v10 offset:5632
	s_waitcnt lgkmcnt(0)
	v_lshrrev_b32_sdwa v11, s88, v9 dst_sel:DWORD dst_unused:UNUSED_PAD src0_sel:DWORD src1_sel:WORD_0
	v_and_b32_e32 v11, s96, v11
	v_lshlrev_b32_e32 v11, 3, v11
	ds_read_b64 v[20:21], v11
	v_mov_b32_e32 v11, 0
	s_waitcnt lgkmcnt(0)
	v_lshl_add_u64 v[20:21], v[20:21], 1, s[78:79]
	v_lshl_add_u64 v[10:11], v[20:21], 0, v[10:11]
	global_store_short v[10:11], v9, off offset:3584
.LBB24_105:
	s_or_b64 exec, exec, s[54:55]
	v_or_b32_e32 v20, 0x800, v2
	v_cmp_gt_u32_e64 s[54:55], s90, v20
	s_and_saveexec_b64 s[56:57], s[54:55]
	s_cbranch_execz .LBB24_107
; %bb.106:
	v_lshlrev_b32_e32 v9, 1, v2
	ds_read_u16 v9, v9 offset:6144
	v_lshlrev_b32_e32 v22, 1, v20
	v_mov_b32_e32 v23, 0
	s_waitcnt lgkmcnt(0)
	v_lshrrev_b32_sdwa v10, s88, v9 dst_sel:DWORD dst_unused:UNUSED_PAD src0_sel:DWORD src1_sel:WORD_0
	v_and_b32_e32 v10, s96, v10
	v_lshlrev_b32_e32 v10, 3, v10
	ds_read_b64 v[10:11], v10
	s_waitcnt lgkmcnt(0)
	v_lshl_add_u64 v[10:11], v[10:11], 1, s[78:79]
	v_lshl_add_u64 v[10:11], v[10:11], 0, v[22:23]
	global_store_short v[10:11], v9, off
.LBB24_107:
	s_or_b64 exec, exec, s[56:57]
	v_add_u32_e32 v21, 0x900, v2
	v_cmp_gt_u32_e64 s[56:57], s90, v21
	s_and_saveexec_b64 s[58:59], s[56:57]
	s_cbranch_execz .LBB24_109
; %bb.108:
	v_lshlrev_b32_e32 v9, 1, v2
	ds_read_u16 v9, v9 offset:6656
	v_lshlrev_b32_e32 v22, 1, v21
	v_mov_b32_e32 v23, 0
	s_waitcnt lgkmcnt(0)
	v_lshrrev_b32_sdwa v10, s88, v9 dst_sel:DWORD dst_unused:UNUSED_PAD src0_sel:DWORD src1_sel:WORD_0
	v_and_b32_e32 v10, s96, v10
	v_lshlrev_b32_e32 v10, 3, v10
	ds_read_b64 v[10:11], v10
	s_waitcnt lgkmcnt(0)
	v_lshl_add_u64 v[10:11], v[10:11], 1, s[78:79]
	v_lshl_add_u64 v[10:11], v[10:11], 0, v[22:23]
	global_store_short v[10:11], v9, off
.LBB24_109:
	s_or_b64 exec, exec, s[58:59]
	v_add_u32_e32 v22, 0xa00, v2
	;; [unrolled: 20-line block ×3, first 2 shown]
	v_cmp_gt_u32_e64 s[60:61], s90, v23
	s_and_saveexec_b64 s[62:63], s[60:61]
	s_cbranch_execz .LBB24_113
; %bb.112:
	v_lshlrev_b32_e32 v9, 1, v2
	ds_read_u16 v9, v9 offset:7680
	v_lshlrev_b32_e32 v24, 1, v23
	v_mov_b32_e32 v25, 0
	s_waitcnt lgkmcnt(0)
	v_lshrrev_b32_sdwa v10, s88, v9 dst_sel:DWORD dst_unused:UNUSED_PAD src0_sel:DWORD src1_sel:WORD_0
	v_and_b32_e32 v10, s96, v10
	v_lshlrev_b32_e32 v10, 3, v10
	ds_read_b64 v[10:11], v10
	s_waitcnt lgkmcnt(0)
	v_lshl_add_u64 v[10:11], v[10:11], 1, s[78:79]
	v_lshl_add_u64 v[10:11], v[10:11], 0, v[24:25]
	global_store_short v[10:11], v9, off
.LBB24_113:
	s_or_b64 exec, exec, s[62:63]
	v_or_b32_e32 v24, 0xc00, v2
	v_cmp_gt_u32_e64 s[62:63], s90, v24
	s_and_saveexec_b64 s[64:65], s[62:63]
	s_cbranch_execz .LBB24_115
; %bb.114:
	v_lshlrev_b32_e32 v9, 1, v2
	ds_read_u16 v9, v9 offset:8192
	v_lshlrev_b32_e32 v26, 1, v24
	v_mov_b32_e32 v27, 0
	s_waitcnt lgkmcnt(0)
	v_lshrrev_b32_sdwa v10, s88, v9 dst_sel:DWORD dst_unused:UNUSED_PAD src0_sel:DWORD src1_sel:WORD_0
	v_and_b32_e32 v10, s96, v10
	v_lshlrev_b32_e32 v10, 3, v10
	ds_read_b64 v[10:11], v10
	s_waitcnt lgkmcnt(0)
	v_lshl_add_u64 v[10:11], v[10:11], 1, s[78:79]
	v_lshl_add_u64 v[10:11], v[10:11], 0, v[26:27]
	global_store_short v[10:11], v9, off
.LBB24_115:
	s_or_b64 exec, exec, s[64:65]
	v_add_u32_e32 v25, 0xd00, v2
	v_cmp_gt_u32_e64 s[64:65], s90, v25
	s_and_saveexec_b64 s[66:67], s[64:65]
	s_cbranch_execz .LBB24_117
; %bb.116:
	v_lshlrev_b32_e32 v9, 1, v2
	ds_read_u16 v9, v9 offset:8704
	v_lshlrev_b32_e32 v26, 1, v25
	v_mov_b32_e32 v27, 0
	s_waitcnt lgkmcnt(0)
	v_lshrrev_b32_sdwa v10, s88, v9 dst_sel:DWORD dst_unused:UNUSED_PAD src0_sel:DWORD src1_sel:WORD_0
	v_and_b32_e32 v10, s96, v10
	v_lshlrev_b32_e32 v10, 3, v10
	ds_read_b64 v[10:11], v10
	s_waitcnt lgkmcnt(0)
	v_lshl_add_u64 v[10:11], v[10:11], 1, s[78:79]
	v_lshl_add_u64 v[10:11], v[10:11], 0, v[26:27]
	global_store_short v[10:11], v9, off
.LBB24_117:
	s_or_b64 exec, exec, s[66:67]
	v_add_u32_e32 v26, 0xe00, v2
	;; [unrolled: 20-line block ×3, first 2 shown]
	v_cmp_gt_u32_e64 s[68:69], s90, v27
	s_and_saveexec_b64 s[70:71], s[68:69]
	s_cbranch_execz .LBB24_121
; %bb.120:
	v_lshlrev_b32_e32 v9, 1, v2
	ds_read_u16 v9, v9 offset:9728
	v_lshlrev_b32_e32 v46, 1, v27
	v_mov_b32_e32 v47, 0
	s_waitcnt lgkmcnt(0)
	v_lshrrev_b32_sdwa v10, s88, v9 dst_sel:DWORD dst_unused:UNUSED_PAD src0_sel:DWORD src1_sel:WORD_0
	v_and_b32_e32 v10, s96, v10
	v_lshlrev_b32_e32 v10, 3, v10
	ds_read_b64 v[10:11], v10
	s_waitcnt lgkmcnt(0)
	v_lshl_add_u64 v[10:11], v[10:11], 1, s[78:79]
	v_lshl_add_u64 v[10:11], v[10:11], 0, v[46:47]
	global_store_short v[10:11], v9, off
.LBB24_121:
	s_or_b64 exec, exec, s[70:71]
	v_or_b32_e32 v43, 0x1000, v2
	v_cmp_gt_u32_e64 s[70:71], s90, v43
	s_and_saveexec_b64 s[72:73], s[70:71]
	s_cbranch_execz .LBB24_123
; %bb.122:
	v_lshlrev_b32_e32 v9, 1, v2
	ds_read_u16 v9, v9 offset:10240
	v_lshlrev_b32_e32 v46, 1, v43
	v_mov_b32_e32 v47, 0
	s_waitcnt lgkmcnt(0)
	v_lshrrev_b32_sdwa v10, s88, v9 dst_sel:DWORD dst_unused:UNUSED_PAD src0_sel:DWORD src1_sel:WORD_0
	v_and_b32_e32 v10, s96, v10
	v_lshlrev_b32_e32 v10, 3, v10
	ds_read_b64 v[10:11], v10
	s_waitcnt lgkmcnt(0)
	v_lshl_add_u64 v[10:11], v[10:11], 1, s[78:79]
	v_lshl_add_u64 v[10:11], v[10:11], 0, v[46:47]
	global_store_short v[10:11], v9, off
.LBB24_123:
	s_or_b64 exec, exec, s[72:73]
	v_add_u32_e32 v44, 0x1100, v2
	v_cmp_gt_u32_e64 s[72:73], s90, v44
	s_and_saveexec_b64 s[90:91], s[72:73]
	s_cbranch_execz .LBB24_125
; %bb.124:
	v_lshlrev_b32_e32 v9, 1, v2
	ds_read_u16 v9, v9 offset:10752
	v_lshlrev_b32_e32 v46, 1, v44
	v_mov_b32_e32 v47, 0
	s_waitcnt lgkmcnt(0)
	v_lshrrev_b32_sdwa v10, s88, v9 dst_sel:DWORD dst_unused:UNUSED_PAD src0_sel:DWORD src1_sel:WORD_0
	v_and_b32_e32 v10, s96, v10
	v_lshlrev_b32_e32 v10, 3, v10
	ds_read_b64 v[10:11], v10
	s_waitcnt lgkmcnt(0)
	v_lshl_add_u64 v[10:11], v[10:11], 1, s[78:79]
	v_lshl_add_u64 v[10:11], v[10:11], 0, v[46:47]
	global_store_short v[10:11], v9, off
.LBB24_125:
	s_or_b64 exec, exec, s[90:91]
	s_lshl_b64 s[90:91], s[92:93], 3
	s_add_u32 s90, s80, s90
	s_addc_u32 s91, s81, s91
	v_lshlrev_b32_e32 v10, 3, v3
	v_mov_b32_e32 v11, 0
	v_lshl_add_u64 v[46:47], s[90:91], 0, v[10:11]
	v_lshlrev_b32_e32 v10, 3, v14
	v_lshl_add_u64 v[10:11], v[46:47], 0, v[10:11]
                                        ; implicit-def: $vgpr60_vgpr61
	s_and_saveexec_b64 s[90:91], vcc
	s_xor_b64 s[90:91], exec, s[90:91]
	s_cbranch_execz .LBB24_143
; %bb.126:
	global_load_dwordx2 v[60:61], v[10:11], off
	s_or_b64 exec, exec, s[90:91]
                                        ; implicit-def: $vgpr62_vgpr63
	s_and_saveexec_b64 s[90:91], s[74:75]
	s_cbranch_execnz .LBB24_144
.LBB24_127:
	s_or_b64 exec, exec, s[90:91]
                                        ; implicit-def: $vgpr64_vgpr65
	s_and_saveexec_b64 s[74:75], s[4:5]
	s_cbranch_execz .LBB24_145
.LBB24_128:
	global_load_dwordx2 v[64:65], v[10:11], off offset:1024
	s_or_b64 exec, exec, s[74:75]
                                        ; implicit-def: $vgpr66_vgpr67
	s_and_saveexec_b64 s[4:5], s[6:7]
	s_cbranch_execnz .LBB24_146
.LBB24_129:
	s_or_b64 exec, exec, s[4:5]
                                        ; implicit-def: $vgpr68_vgpr69
	s_and_saveexec_b64 s[4:5], s[8:9]
	s_cbranch_execz .LBB24_147
.LBB24_130:
	global_load_dwordx2 v[68:69], v[10:11], off offset:2048
	s_or_b64 exec, exec, s[4:5]
                                        ; implicit-def: $vgpr70_vgpr71
	s_and_saveexec_b64 s[4:5], s[10:11]
	s_cbranch_execnz .LBB24_148
.LBB24_131:
	s_or_b64 exec, exec, s[4:5]
                                        ; implicit-def: $vgpr72_vgpr73
	s_and_saveexec_b64 s[4:5], s[12:13]
	s_cbranch_execz .LBB24_149
.LBB24_132:
	global_load_dwordx2 v[72:73], v[10:11], off offset:3072
	s_or_b64 exec, exec, s[4:5]
                                        ; implicit-def: $vgpr74_vgpr75
	s_and_saveexec_b64 s[4:5], s[14:15]
	s_cbranch_execnz .LBB24_150
.LBB24_133:
	s_or_b64 exec, exec, s[4:5]
                                        ; implicit-def: $vgpr76_vgpr77
	s_and_saveexec_b64 s[4:5], s[16:17]
	s_cbranch_execz .LBB24_151
.LBB24_134:
	v_add_co_u32_e32 v46, vcc, 0x1000, v10
	s_nop 1
	v_addc_co_u32_e32 v47, vcc, 0, v11, vcc
	global_load_dwordx2 v[76:77], v[46:47], off
	s_or_b64 exec, exec, s[4:5]
                                        ; implicit-def: $vgpr78_vgpr79
	s_and_saveexec_b64 s[4:5], s[18:19]
	s_cbranch_execnz .LBB24_152
.LBB24_135:
	s_or_b64 exec, exec, s[4:5]
                                        ; implicit-def: $vgpr80_vgpr81
	s_and_saveexec_b64 s[4:5], s[20:21]
	s_cbranch_execz .LBB24_153
.LBB24_136:
	v_add_co_u32_e32 v46, vcc, 0x1000, v10
	s_nop 1
	v_addc_co_u32_e32 v47, vcc, 0, v11, vcc
	global_load_dwordx2 v[80:81], v[46:47], off offset:1024
	s_or_b64 exec, exec, s[4:5]
                                        ; implicit-def: $vgpr82_vgpr83
	s_and_saveexec_b64 s[4:5], s[22:23]
	s_cbranch_execnz .LBB24_154
.LBB24_137:
	s_or_b64 exec, exec, s[4:5]
                                        ; implicit-def: $vgpr84_vgpr85
	s_and_saveexec_b64 s[4:5], s[24:25]
	s_cbranch_execz .LBB24_155
.LBB24_138:
	v_add_co_u32_e32 v46, vcc, 0x1000, v10
	s_nop 1
	v_addc_co_u32_e32 v47, vcc, 0, v11, vcc
	global_load_dwordx2 v[84:85], v[46:47], off offset:2048
	s_or_b64 exec, exec, s[4:5]
                                        ; implicit-def: $vgpr86_vgpr87
	s_and_saveexec_b64 s[4:5], s[26:27]
	s_cbranch_execnz .LBB24_156
.LBB24_139:
	s_or_b64 exec, exec, s[4:5]
                                        ; implicit-def: $vgpr88_vgpr89
	s_and_saveexec_b64 s[4:5], s[28:29]
	s_cbranch_execz .LBB24_157
.LBB24_140:
	v_add_co_u32_e32 v46, vcc, 0x1000, v10
	s_nop 1
	v_addc_co_u32_e32 v47, vcc, 0, v11, vcc
	global_load_dwordx2 v[88:89], v[46:47], off offset:3072
	s_or_b64 exec, exec, s[4:5]
                                        ; implicit-def: $vgpr90_vgpr91
	s_and_saveexec_b64 s[4:5], s[30:31]
	s_cbranch_execnz .LBB24_158
.LBB24_141:
	s_or_b64 exec, exec, s[4:5]
                                        ; implicit-def: $vgpr92_vgpr93
	s_and_saveexec_b64 s[4:5], s[34:35]
	s_cbranch_execz .LBB24_159
.LBB24_142:
	v_add_co_u32_e32 v46, vcc, 0x2000, v10
	s_nop 1
	v_addc_co_u32_e32 v47, vcc, 0, v11, vcc
	global_load_dwordx2 v[92:93], v[46:47], off
	s_or_b64 exec, exec, s[4:5]
                                        ; implicit-def: $vgpr94_vgpr95
	s_and_saveexec_b64 s[4:5], s[36:37]
	s_cbranch_execnz .LBB24_160
	s_branch .LBB24_161
.LBB24_143:
	s_or_b64 exec, exec, s[90:91]
                                        ; implicit-def: $vgpr62_vgpr63
	s_and_saveexec_b64 s[90:91], s[74:75]
	s_cbranch_execz .LBB24_127
.LBB24_144:
	global_load_dwordx2 v[62:63], v[10:11], off offset:512
	s_or_b64 exec, exec, s[90:91]
                                        ; implicit-def: $vgpr64_vgpr65
	s_and_saveexec_b64 s[74:75], s[4:5]
	s_cbranch_execnz .LBB24_128
.LBB24_145:
	s_or_b64 exec, exec, s[74:75]
                                        ; implicit-def: $vgpr66_vgpr67
	s_and_saveexec_b64 s[4:5], s[6:7]
	s_cbranch_execz .LBB24_129
.LBB24_146:
	global_load_dwordx2 v[66:67], v[10:11], off offset:1536
	s_or_b64 exec, exec, s[4:5]
                                        ; implicit-def: $vgpr68_vgpr69
	s_and_saveexec_b64 s[4:5], s[8:9]
	s_cbranch_execnz .LBB24_130
.LBB24_147:
	s_or_b64 exec, exec, s[4:5]
                                        ; implicit-def: $vgpr70_vgpr71
	s_and_saveexec_b64 s[4:5], s[10:11]
	s_cbranch_execz .LBB24_131
.LBB24_148:
	global_load_dwordx2 v[70:71], v[10:11], off offset:2560
	s_or_b64 exec, exec, s[4:5]
                                        ; implicit-def: $vgpr72_vgpr73
	s_and_saveexec_b64 s[4:5], s[12:13]
	s_cbranch_execnz .LBB24_132
.LBB24_149:
	s_or_b64 exec, exec, s[4:5]
                                        ; implicit-def: $vgpr74_vgpr75
	s_and_saveexec_b64 s[4:5], s[14:15]
	s_cbranch_execz .LBB24_133
.LBB24_150:
	global_load_dwordx2 v[74:75], v[10:11], off offset:3584
	s_or_b64 exec, exec, s[4:5]
                                        ; implicit-def: $vgpr76_vgpr77
	s_and_saveexec_b64 s[4:5], s[16:17]
	s_cbranch_execnz .LBB24_134
.LBB24_151:
	s_or_b64 exec, exec, s[4:5]
                                        ; implicit-def: $vgpr78_vgpr79
	s_and_saveexec_b64 s[4:5], s[18:19]
	s_cbranch_execz .LBB24_135
.LBB24_152:
	v_add_co_u32_e32 v46, vcc, 0x1000, v10
	s_nop 1
	v_addc_co_u32_e32 v47, vcc, 0, v11, vcc
	global_load_dwordx2 v[78:79], v[46:47], off offset:512
	s_or_b64 exec, exec, s[4:5]
                                        ; implicit-def: $vgpr80_vgpr81
	s_and_saveexec_b64 s[4:5], s[20:21]
	s_cbranch_execnz .LBB24_136
.LBB24_153:
	s_or_b64 exec, exec, s[4:5]
                                        ; implicit-def: $vgpr82_vgpr83
	s_and_saveexec_b64 s[4:5], s[22:23]
	s_cbranch_execz .LBB24_137
.LBB24_154:
	v_add_co_u32_e32 v46, vcc, 0x1000, v10
	s_nop 1
	v_addc_co_u32_e32 v47, vcc, 0, v11, vcc
	global_load_dwordx2 v[82:83], v[46:47], off offset:1536
	s_or_b64 exec, exec, s[4:5]
                                        ; implicit-def: $vgpr84_vgpr85
	s_and_saveexec_b64 s[4:5], s[24:25]
	s_cbranch_execnz .LBB24_138
.LBB24_155:
	s_or_b64 exec, exec, s[4:5]
                                        ; implicit-def: $vgpr86_vgpr87
	s_and_saveexec_b64 s[4:5], s[26:27]
	s_cbranch_execz .LBB24_139
.LBB24_156:
	v_add_co_u32_e32 v46, vcc, 0x1000, v10
	s_nop 1
	v_addc_co_u32_e32 v47, vcc, 0, v11, vcc
	global_load_dwordx2 v[86:87], v[46:47], off offset:2560
	s_or_b64 exec, exec, s[4:5]
                                        ; implicit-def: $vgpr88_vgpr89
	s_and_saveexec_b64 s[4:5], s[28:29]
	s_cbranch_execnz .LBB24_140
.LBB24_157:
	s_or_b64 exec, exec, s[4:5]
                                        ; implicit-def: $vgpr90_vgpr91
	s_and_saveexec_b64 s[4:5], s[30:31]
	s_cbranch_execz .LBB24_141
.LBB24_158:
	v_add_co_u32_e32 v46, vcc, 0x1000, v10
	s_nop 1
	v_addc_co_u32_e32 v47, vcc, 0, v11, vcc
	global_load_dwordx2 v[90:91], v[46:47], off offset:3584
	s_or_b64 exec, exec, s[4:5]
                                        ; implicit-def: $vgpr92_vgpr93
	s_and_saveexec_b64 s[4:5], s[34:35]
	s_cbranch_execnz .LBB24_142
.LBB24_159:
	s_or_b64 exec, exec, s[4:5]
                                        ; implicit-def: $vgpr94_vgpr95
	s_and_saveexec_b64 s[4:5], s[36:37]
	s_cbranch_execz .LBB24_161
.LBB24_160:
	v_add_co_u32_e32 v10, vcc, 0x2000, v10
	s_nop 1
	v_addc_co_u32_e32 v11, vcc, 0, v11, vcc
	global_load_dwordx2 v[94:95], v[10:11], off offset:512
.LBB24_161:
	s_or_b64 exec, exec, s[4:5]
	v_mov_b32_e32 v56, 0
	v_mov_b32_e32 v9, 0
	s_and_saveexec_b64 s[4:5], s[38:39]
	s_cbranch_execz .LBB24_163
; %bb.162:
	v_lshlrev_b32_e32 v3, 1, v2
	ds_read_u16 v3, v3 offset:2048
	s_waitcnt lgkmcnt(0)
	v_lshrrev_b32_e32 v3, s88, v3
	v_and_b32_e32 v9, s96, v3
.LBB24_163:
	s_or_b64 exec, exec, s[4:5]
	s_and_saveexec_b64 s[4:5], s[40:41]
	s_cbranch_execz .LBB24_165
; %bb.164:
	v_lshlrev_b32_e32 v3, 1, v2
	ds_read_u16 v3, v3 offset:2560
	s_waitcnt lgkmcnt(0)
	v_lshrrev_b32_e32 v3, s88, v3
	v_and_b32_e32 v56, s96, v3
.LBB24_165:
	s_or_b64 exec, exec, s[4:5]
	v_mov_b32_e32 v54, 0
	v_mov_b32_e32 v58, 0
	s_and_saveexec_b64 s[4:5], s[42:43]
	s_cbranch_execz .LBB24_167
; %bb.166:
	v_lshlrev_b32_e32 v3, 1, v2
	ds_read_u16 v3, v3 offset:3072
	s_waitcnt lgkmcnt(0)
	v_lshrrev_b32_e32 v3, s88, v3
	v_and_b32_e32 v58, s96, v3
.LBB24_167:
	s_or_b64 exec, exec, s[4:5]
	s_and_saveexec_b64 s[4:5], s[44:45]
	s_cbranch_execz .LBB24_169
; %bb.168:
	v_lshlrev_b32_e32 v3, 1, v2
	ds_read_u16 v3, v3 offset:3584
	s_waitcnt lgkmcnt(0)
	v_lshrrev_b32_e32 v3, s88, v3
	v_and_b32_e32 v54, s96, v3
.LBB24_169:
	;; [unrolled: 22-line block ×9, first 2 shown]
	s_or_b64 exec, exec, s[4:5]
	v_lshlrev_b32_e32 v2, 3, v45
	s_barrier
	s_waitcnt vmcnt(0)
	ds_write_b64 v2, v[60:61] offset:2048
	v_lshlrev_b32_e32 v2, 3, v42
	ds_write_b64 v2, v[62:63] offset:2048
	v_lshlrev_b32_e32 v2, 3, v41
	;; [unrolled: 2-line block ×17, first 2 shown]
	ds_write_b64 v2, v[94:95] offset:2048
	s_waitcnt lgkmcnt(0)
	s_barrier
	s_and_saveexec_b64 s[4:5], s[38:39]
	s_cbranch_execz .LBB24_274
; %bb.198:
	v_lshlrev_b32_e32 v2, 3, v9
	ds_read_b64 v[28:29], v2
	ds_read_b64 v[30:31], v8 offset:2048
	v_mov_b32_e32 v9, 0
	s_waitcnt lgkmcnt(1)
	v_lshl_add_u64 v[28:29], v[28:29], 3, s[82:83]
	v_lshl_add_u64 v[28:29], v[28:29], 0, v[8:9]
	s_waitcnt lgkmcnt(0)
	global_store_dwordx2 v[28:29], v[30:31], off
	s_or_b64 exec, exec, s[4:5]
	s_and_saveexec_b64 s[4:5], s[40:41]
	s_cbranch_execnz .LBB24_275
.LBB24_199:
	s_or_b64 exec, exec, s[4:5]
	s_and_saveexec_b64 s[4:5], s[42:43]
	s_cbranch_execz .LBB24_276
.LBB24_200:
	v_lshlrev_b32_e32 v2, 3, v58
	ds_read_b64 v[28:29], v2
	ds_read_b64 v[30:31], v8 offset:6144
	v_lshlrev_b32_e32 v32, 3, v12
	v_mov_b32_e32 v33, 0
	s_waitcnt lgkmcnt(1)
	v_lshl_add_u64 v[28:29], v[28:29], 3, s[82:83]
	v_lshl_add_u64 v[28:29], v[28:29], 0, v[32:33]
	s_waitcnt lgkmcnt(0)
	global_store_dwordx2 v[28:29], v[30:31], off
	s_or_b64 exec, exec, s[4:5]
	s_and_saveexec_b64 s[4:5], s[44:45]
	s_cbranch_execnz .LBB24_277
.LBB24_201:
	s_or_b64 exec, exec, s[4:5]
	s_and_saveexec_b64 s[4:5], s[46:47]
	s_cbranch_execz .LBB24_278
.LBB24_202:
	v_lshlrev_b32_e32 v2, 3, v57
	ds_read_b64 v[12:13], v2
	ds_read_b64 v[28:29], v8 offset:10240
	v_lshlrev_b32_e32 v30, 3, v15
	v_mov_b32_e32 v31, 0
	s_waitcnt lgkmcnt(1)
	v_lshl_add_u64 v[12:13], v[12:13], 3, s[82:83]
	v_lshl_add_u64 v[12:13], v[12:13], 0, v[30:31]
	s_waitcnt lgkmcnt(0)
	global_store_dwordx2 v[12:13], v[28:29], off
	s_or_b64 exec, exec, s[4:5]
	s_and_saveexec_b64 s[4:5], s[48:49]
	s_cbranch_execnz .LBB24_279
.LBB24_203:
	s_or_b64 exec, exec, s[4:5]
	s_and_saveexec_b64 s[4:5], s[50:51]
	s_cbranch_execz .LBB24_280
.LBB24_204:
	v_lshlrev_b32_e32 v2, 3, v55
	ds_read_b64 v[12:13], v2
	ds_read_b64 v[16:17], v8 offset:14336
	v_lshlrev_b32_e32 v28, 3, v18
	v_mov_b32_e32 v29, 0
	s_waitcnt lgkmcnt(1)
	v_lshl_add_u64 v[12:13], v[12:13], 3, s[82:83]
	v_lshl_add_u64 v[12:13], v[12:13], 0, v[28:29]
	s_waitcnt lgkmcnt(0)
	global_store_dwordx2 v[12:13], v[16:17], off
	s_or_b64 exec, exec, s[4:5]
	s_and_saveexec_b64 s[4:5], s[52:53]
	s_cbranch_execnz .LBB24_281
.LBB24_205:
	s_or_b64 exec, exec, s[4:5]
	s_and_saveexec_b64 s[4:5], s[54:55]
	s_cbranch_execz .LBB24_282
.LBB24_206:
	v_lshlrev_b32_e32 v2, 3, v53
	ds_read_b64 v[12:13], v2
	ds_read_b64 v[16:17], v8 offset:18432
	v_lshlrev_b32_e32 v18, 3, v20
	v_mov_b32_e32 v19, 0
	s_waitcnt lgkmcnt(1)
	v_lshl_add_u64 v[12:13], v[12:13], 3, s[82:83]
	v_lshl_add_u64 v[12:13], v[12:13], 0, v[18:19]
	s_waitcnt lgkmcnt(0)
	global_store_dwordx2 v[12:13], v[16:17], off
	s_or_b64 exec, exec, s[4:5]
	s_and_saveexec_b64 s[4:5], s[56:57]
	s_cbranch_execnz .LBB24_283
.LBB24_207:
	s_or_b64 exec, exec, s[4:5]
	s_and_saveexec_b64 s[4:5], s[58:59]
	s_cbranch_execz .LBB24_284
.LBB24_208:
	v_lshlrev_b32_e32 v2, 3, v51
	ds_read_b64 v[12:13], v2
	ds_read_b64 v[16:17], v8 offset:22528
	v_lshlrev_b32_e32 v18, 3, v22
	v_mov_b32_e32 v19, 0
	s_waitcnt lgkmcnt(1)
	v_lshl_add_u64 v[12:13], v[12:13], 3, s[82:83]
	v_lshl_add_u64 v[12:13], v[12:13], 0, v[18:19]
	s_waitcnt lgkmcnt(0)
	global_store_dwordx2 v[12:13], v[16:17], off
	s_or_b64 exec, exec, s[4:5]
	s_and_saveexec_b64 s[4:5], s[60:61]
	s_cbranch_execnz .LBB24_285
.LBB24_209:
	s_or_b64 exec, exec, s[4:5]
	s_and_saveexec_b64 s[4:5], s[62:63]
	s_cbranch_execz .LBB24_286
.LBB24_210:
	v_lshlrev_b32_e32 v2, 3, v49
	ds_read_b64 v[12:13], v2
	ds_read_b64 v[16:17], v8 offset:26624
	v_lshlrev_b32_e32 v18, 3, v24
	v_mov_b32_e32 v19, 0
	s_waitcnt lgkmcnt(1)
	v_lshl_add_u64 v[12:13], v[12:13], 3, s[82:83]
	v_lshl_add_u64 v[12:13], v[12:13], 0, v[18:19]
	s_waitcnt lgkmcnt(0)
	global_store_dwordx2 v[12:13], v[16:17], off
	s_or_b64 exec, exec, s[4:5]
	s_and_saveexec_b64 s[4:5], s[64:65]
	s_cbranch_execnz .LBB24_287
.LBB24_211:
	s_or_b64 exec, exec, s[4:5]
	s_and_saveexec_b64 s[4:5], s[66:67]
	s_cbranch_execz .LBB24_288
.LBB24_212:
	v_lshlrev_b32_e32 v2, 3, v47
	ds_read_b64 v[12:13], v2
	ds_read_b64 v[16:17], v8 offset:30720
	v_lshlrev_b32_e32 v18, 3, v26
	v_mov_b32_e32 v19, 0
	s_waitcnt lgkmcnt(1)
	v_lshl_add_u64 v[12:13], v[12:13], 3, s[82:83]
	v_lshl_add_u64 v[12:13], v[12:13], 0, v[18:19]
	s_waitcnt lgkmcnt(0)
	global_store_dwordx2 v[12:13], v[16:17], off
	s_or_b64 exec, exec, s[4:5]
	s_and_saveexec_b64 s[4:5], s[68:69]
	s_cbranch_execnz .LBB24_289
.LBB24_213:
	s_or_b64 exec, exec, s[4:5]
	s_and_saveexec_b64 s[4:5], s[70:71]
	s_cbranch_execz .LBB24_290
.LBB24_214:
	v_lshlrev_b32_e32 v2, 3, v14
	ds_read_b64 v[10:11], v2
	ds_read_b64 v[12:13], v8 offset:34816
	v_lshlrev_b32_e32 v14, 3, v43
	v_mov_b32_e32 v15, 0
	s_waitcnt lgkmcnt(1)
	v_lshl_add_u64 v[10:11], v[10:11], 3, s[82:83]
	v_lshl_add_u64 v[10:11], v[10:11], 0, v[14:15]
	s_waitcnt lgkmcnt(0)
	global_store_dwordx2 v[10:11], v[12:13], off
	s_or_b64 exec, exec, s[4:5]
	s_and_saveexec_b64 s[4:5], s[72:73]
	s_cbranch_execnz .LBB24_291
.LBB24_215:
	s_or_b64 exec, exec, s[4:5]
	s_add_i32 s33, s33, -1
	s_cmp_eq_u32 s2, s33
	s_cbranch_scc0 .LBB24_217
.LBB24_216:
	ds_read_b64 v[2:3], v8
	v_mov_b32_e32 v7, 0
	v_lshl_add_u64 v[4:5], v[6:7], 0, v[4:5]
	s_waitcnt lgkmcnt(0)
	v_lshl_add_u64 v[2:3], v[4:5], 0, v[2:3]
	global_store_dwordx2 v8, v[2:3], s[86:87]
.LBB24_217:
	s_mov_b64 s[4:5], 0
.LBB24_218:
	s_and_b64 vcc, exec, s[4:5]
	s_cbranch_vccz .LBB24_273
; %bb.219:
	s_mov_b32 s93, 0
	s_lshl_b64 s[4:5], s[92:93], 1
	s_add_u32 s4, s76, s4
	v_mbcnt_hi_u32_b32 v12, -1, v1
	v_and_b32_e32 v26, 0xc0, v0
	s_addc_u32 s5, s77, s5
	v_mul_u32_u24_e32 v3, 18, v26
	v_mov_b32_e32 v5, 0
	v_lshlrev_b32_e32 v4, 1, v12
	v_lshl_add_u64 v[6:7], s[4:5], 0, v[4:5]
	v_lshlrev_b32_e32 v4, 1, v3
	v_lshl_add_u64 v[28:29], v[6:7], 0, v[4:5]
	global_load_ushort v6, v[28:29], off
	s_load_dword s4, s[0:1], 0x5c
	s_load_dword s8, s[0:1], 0x50
	s_add_u32 s0, s0, 0x50
	s_addc_u32 s1, s1, 0
	v_and_b32_e32 v2, 0x3ff, v0
	s_waitcnt lgkmcnt(0)
	s_lshr_b32 s4, s4, 16
	s_cmp_lt_u32 s2, s8
	s_cselect_b32 s5, 12, 18
	s_add_u32 s0, s0, s5
	s_addc_u32 s1, s1, 0
	global_load_ushort v27, v5, s[0:1]
	v_mul_u32_u24_e32 v18, 20, v2
	ds_write2_b32 v18, v5, v5 offset0:4 offset1:5
	ds_write2_b32 v18, v5, v5 offset0:6 offset1:7
	ds_write_b32 v18, v5 offset:32
	global_load_ushort v25, v[28:29], off offset:128
	global_load_ushort v24, v[28:29], off offset:256
	global_load_ushort v23, v[28:29], off offset:384
	global_load_ushort v22, v[28:29], off offset:512
	global_load_ushort v21, v[28:29], off offset:640
	global_load_ushort v20, v[28:29], off offset:768
	global_load_ushort v19, v[28:29], off offset:896
	global_load_ushort v17, v[28:29], off offset:1024
	global_load_ushort v16, v[28:29], off offset:1152
	global_load_ushort v15, v[28:29], off offset:1280
	global_load_ushort v14, v[28:29], off offset:1408
	global_load_ushort v13, v[28:29], off offset:1536
	global_load_ushort v11, v[28:29], off offset:1664
	global_load_ushort v10, v[28:29], off offset:1792
	global_load_ushort v9, v[28:29], off offset:1920
	global_load_ushort v8, v[28:29], off offset:2048
	global_load_ushort v7, v[28:29], off offset:2176
	v_bfe_u32 v1, v0, 10, 10
	v_bfe_u32 v4, v0, 20, 10
	v_mad_u32_u24 v28, v4, s4, v1
	s_lshl_b32 s0, -1, s89
	v_mov_b32_e32 v0, v5
	v_mov_b32_e32 v30, v5
	s_not_b32 s9, s0
	v_mov_b32_e32 v32, v5
	s_waitcnt lgkmcnt(0)
	s_barrier
	s_waitcnt vmcnt(18)
	; wave barrier
	v_lshrrev_b32_sdwa v1, s88, v6 dst_sel:DWORD dst_unused:UNUSED_PAD src0_sel:DWORD src1_sel:WORD_0
	v_bitop3_b32 v36, v1, s0, v1 bitop3:0x30
	v_and_b32_e32 v4, 1, v36
	v_lshlrev_b32_e32 v1, 30, v36
	v_lshlrev_b32_e32 v31, 29, v36
	v_lshl_add_u64 v[34:35], v[4:5], 0, -1
	v_cmp_ne_u32_e32 vcc, 0, v4
	v_cmp_gt_i64_e64 s[0:1], 0, v[0:1]
	v_not_b32_e32 v4, v1
	v_lshlrev_b32_e32 v33, 28, v36
	s_waitcnt vmcnt(17)
	v_mad_u64_u32 v[0:1], s[10:11], v28, v27, v[2:3]
	v_cmp_gt_i64_e64 s[4:5], 0, v[30:31]
	v_not_b32_e32 v30, v31
	v_xor_b32_e32 v1, vcc_hi, v35
	v_xor_b32_e32 v27, vcc_lo, v34
	v_ashrrev_i32_e32 v4, 31, v4
	v_cmp_gt_i64_e64 s[6:7], 0, v[32:33]
	v_not_b32_e32 v31, v33
	v_ashrrev_i32_e32 v28, 31, v30
	v_lshrrev_b32_e32 v0, 4, v0
	v_and_b32_e32 v1, exec_hi, v1
	v_and_b32_e32 v27, exec_lo, v27
	v_xor_b32_e32 v32, s1, v4
	v_xor_b32_e32 v4, s0, v4
	v_lshlrev_b32_e32 v29, 27, v36
	v_ashrrev_i32_e32 v30, 31, v31
	v_xor_b32_e32 v33, s5, v28
	v_xor_b32_e32 v28, s4, v28
	v_and_b32_e32 v31, 0xffffffc, v0
	v_and_b32_e32 v0, v1, v32
	v_and_b32_e32 v1, v27, v4
	v_and_b32_e32 v1, v1, v28
	v_mov_b32_e32 v28, v5
	v_not_b32_e32 v4, v29
	v_xor_b32_e32 v34, s7, v30
	v_xor_b32_e32 v30, s6, v30
	v_and_b32_e32 v0, v0, v33
	v_cmp_gt_i64_e32 vcc, 0, v[28:29]
	v_ashrrev_i32_e32 v4, 31, v4
	v_and_b32_e32 v0, v0, v34
	v_and_b32_e32 v1, v1, v30
	v_xor_b32_e32 v27, vcc_hi, v4
	v_xor_b32_e32 v4, vcc_lo, v4
	v_and_b32_e32 v27, v0, v27
	v_and_b32_e32 v4, v1, v4
	v_lshlrev_b32_e32 v1, 26, v36
	v_mov_b32_e32 v0, v5
	v_cmp_gt_i64_e32 vcc, 0, v[0:1]
	v_not_b32_e32 v0, v1
	v_ashrrev_i32_e32 v0, 31, v0
	v_xor_b32_e32 v1, vcc_hi, v0
	v_xor_b32_e32 v0, vcc_lo, v0
	v_and_b32_e32 v27, v27, v1
	v_and_b32_e32 v4, v4, v0
	v_lshlrev_b32_e32 v1, 25, v36
	v_mov_b32_e32 v0, v5
	v_cmp_gt_i64_e32 vcc, 0, v[0:1]
	v_not_b32_e32 v0, v1
	v_ashrrev_i32_e32 v0, 31, v0
	;; [unrolled: 9-line block ×3, first 2 shown]
	v_xor_b32_e32 v1, vcc_hi, v0
	v_xor_b32_e32 v0, vcc_lo, v0
	v_and_b32_e32 v0, v4, v0
	v_and_b32_e32 v1, v27, v1
	v_mbcnt_lo_u32_b32 v4, v0, 0
	v_mbcnt_hi_u32_b32 v27, v1, v4
	v_mul_u32_u24_e32 v37, 20, v36
	v_cmp_eq_u32_e32 vcc, 0, v27
	v_cmp_ne_u64_e64 s[0:1], 0, v[0:1]
	s_and_b64 s[4:5], s[0:1], vcc
	v_add_u32_e32 v29, v31, v37
	s_and_saveexec_b64 s[0:1], s[4:5]
; %bb.220:
	v_bcnt_u32_b32 v0, v0, 0
	v_bcnt_u32_b32 v0, v1, v0
	ds_write_b32 v29, v0 offset:16
; %bb.221:
	s_or_b64 exec, exec, s[0:1]
	s_waitcnt vmcnt(16)
	v_lshrrev_b32_sdwa v0, s88, v25 dst_sel:DWORD dst_unused:UNUSED_PAD src0_sel:DWORD src1_sel:WORD_0
	v_and_b32_e32 v30, s9, v0
	v_mad_u32_u24 v0, v30, 20, v31
	v_and_b32_e32 v4, 1, v30
	; wave barrier
	ds_read_b32 v28, v0 offset:16
	v_lshl_add_u64 v[0:1], v[4:5], 0, -1
	v_cmp_ne_u32_e32 vcc, 0, v4
	v_mul_u32_u24_e32 v32, 20, v30
	s_nop 0
	v_xor_b32_e32 v1, vcc_hi, v1
	v_xor_b32_e32 v0, vcc_lo, v0
	v_and_b32_e32 v4, exec_hi, v1
	v_and_b32_e32 v33, exec_lo, v0
	v_lshlrev_b32_e32 v1, 30, v30
	v_mov_b32_e32 v0, v5
	v_cmp_gt_i64_e32 vcc, 0, v[0:1]
	v_not_b32_e32 v0, v1
	v_ashrrev_i32_e32 v0, 31, v0
	v_xor_b32_e32 v1, vcc_hi, v0
	v_xor_b32_e32 v0, vcc_lo, v0
	v_and_b32_e32 v4, v4, v1
	v_and_b32_e32 v33, v33, v0
	v_lshlrev_b32_e32 v1, 29, v30
	v_mov_b32_e32 v0, v5
	v_cmp_gt_i64_e32 vcc, 0, v[0:1]
	v_not_b32_e32 v0, v1
	v_ashrrev_i32_e32 v0, 31, v0
	v_xor_b32_e32 v1, vcc_hi, v0
	v_xor_b32_e32 v0, vcc_lo, v0
	v_and_b32_e32 v4, v4, v1
	v_and_b32_e32 v33, v33, v0
	;; [unrolled: 9-line block ×7, first 2 shown]
	v_mbcnt_lo_u32_b32 v4, v0, 0
	v_mbcnt_hi_u32_b32 v30, v1, v4
	v_cmp_eq_u32_e32 vcc, 0, v30
	v_cmp_ne_u64_e64 s[0:1], 0, v[0:1]
	s_and_b64 s[4:5], s[0:1], vcc
	v_add_u32_e32 v33, v31, v32
	; wave barrier
	s_and_saveexec_b64 s[0:1], s[4:5]
	s_cbranch_execz .LBB24_223
; %bb.222:
	v_bcnt_u32_b32 v0, v0, 0
	v_bcnt_u32_b32 v0, v1, v0
	s_waitcnt lgkmcnt(0)
	v_add_u32_e32 v0, v28, v0
	ds_write_b32 v33, v0 offset:16
.LBB24_223:
	s_or_b64 exec, exec, s[0:1]
	s_waitcnt vmcnt(15)
	v_lshrrev_b32_sdwa v0, s88, v24 dst_sel:DWORD dst_unused:UNUSED_PAD src0_sel:DWORD src1_sel:WORD_0
	v_and_b32_e32 v34, s9, v0
	v_mad_u32_u24 v0, v34, 20, v31
	; wave barrier
	ds_read_b32 v32, v0 offset:16
	v_and_b32_e32 v0, 1, v34
	v_mov_b32_e32 v1, 0
	v_lshl_add_u64 v[4:5], v[0:1], 0, -1
	v_cmp_ne_u32_e32 vcc, 0, v0
	v_mul_u32_u24_e32 v35, 20, v34
	s_nop 0
	v_xor_b32_e32 v4, vcc_lo, v4
	v_xor_b32_e32 v0, vcc_hi, v5
	v_and_b32_e32 v36, exec_lo, v4
	v_lshlrev_b32_e32 v5, 30, v34
	v_mov_b32_e32 v4, v1
	v_cmp_gt_i64_e32 vcc, 0, v[4:5]
	v_not_b32_e32 v4, v5
	v_ashrrev_i32_e32 v4, 31, v4
	v_and_b32_e32 v0, exec_hi, v0
	v_xor_b32_e32 v5, vcc_hi, v4
	v_xor_b32_e32 v4, vcc_lo, v4
	v_and_b32_e32 v0, v0, v5
	v_and_b32_e32 v36, v36, v4
	v_lshlrev_b32_e32 v5, 29, v34
	v_mov_b32_e32 v4, v1
	v_cmp_gt_i64_e32 vcc, 0, v[4:5]
	v_not_b32_e32 v4, v5
	v_ashrrev_i32_e32 v4, 31, v4
	v_xor_b32_e32 v5, vcc_hi, v4
	v_xor_b32_e32 v4, vcc_lo, v4
	v_and_b32_e32 v0, v0, v5
	v_and_b32_e32 v36, v36, v4
	v_lshlrev_b32_e32 v5, 28, v34
	v_mov_b32_e32 v4, v1
	v_cmp_gt_i64_e32 vcc, 0, v[4:5]
	v_not_b32_e32 v4, v5
	v_ashrrev_i32_e32 v4, 31, v4
	;; [unrolled: 9-line block ×6, first 2 shown]
	v_xor_b32_e32 v5, vcc_hi, v4
	v_xor_b32_e32 v4, vcc_lo, v4
	v_and_b32_e32 v4, v36, v4
	v_and_b32_e32 v5, v0, v5
	v_mbcnt_lo_u32_b32 v0, v4, 0
	v_mbcnt_hi_u32_b32 v34, v5, v0
	v_cmp_eq_u32_e32 vcc, 0, v34
	v_cmp_ne_u64_e64 s[0:1], 0, v[4:5]
	s_and_b64 s[4:5], s[0:1], vcc
	v_add_u32_e32 v36, v31, v35
	; wave barrier
	s_and_saveexec_b64 s[0:1], s[4:5]
	s_cbranch_execz .LBB24_225
; %bb.224:
	v_bcnt_u32_b32 v0, v4, 0
	v_bcnt_u32_b32 v0, v5, v0
	s_waitcnt lgkmcnt(0)
	v_add_u32_e32 v0, v32, v0
	ds_write_b32 v36, v0 offset:16
.LBB24_225:
	s_or_b64 exec, exec, s[0:1]
	s_waitcnt vmcnt(14)
	v_lshrrev_b32_sdwa v0, s88, v23 dst_sel:DWORD dst_unused:UNUSED_PAD src0_sel:DWORD src1_sel:WORD_0
	v_and_b32_e32 v37, s9, v0
	v_mad_u32_u24 v0, v37, 20, v31
	; wave barrier
	ds_read_b32 v35, v0 offset:16
	v_and_b32_e32 v0, 1, v37
	v_lshl_add_u64 v[4:5], v[0:1], 0, -1
	v_cmp_ne_u32_e32 vcc, 0, v0
	v_mul_u32_u24_e32 v38, 20, v37
	s_nop 0
	v_xor_b32_e32 v4, vcc_lo, v4
	v_xor_b32_e32 v0, vcc_hi, v5
	v_and_b32_e32 v39, exec_lo, v4
	v_lshlrev_b32_e32 v5, 30, v37
	v_mov_b32_e32 v4, v1
	v_cmp_gt_i64_e32 vcc, 0, v[4:5]
	v_not_b32_e32 v4, v5
	v_ashrrev_i32_e32 v4, 31, v4
	v_and_b32_e32 v0, exec_hi, v0
	v_xor_b32_e32 v5, vcc_hi, v4
	v_xor_b32_e32 v4, vcc_lo, v4
	v_and_b32_e32 v0, v0, v5
	v_and_b32_e32 v39, v39, v4
	v_lshlrev_b32_e32 v5, 29, v37
	v_mov_b32_e32 v4, v1
	v_cmp_gt_i64_e32 vcc, 0, v[4:5]
	v_not_b32_e32 v4, v5
	v_ashrrev_i32_e32 v4, 31, v4
	v_xor_b32_e32 v5, vcc_hi, v4
	v_xor_b32_e32 v4, vcc_lo, v4
	v_and_b32_e32 v0, v0, v5
	v_and_b32_e32 v39, v39, v4
	v_lshlrev_b32_e32 v5, 28, v37
	v_mov_b32_e32 v4, v1
	v_cmp_gt_i64_e32 vcc, 0, v[4:5]
	v_not_b32_e32 v4, v5
	v_ashrrev_i32_e32 v4, 31, v4
	;; [unrolled: 9-line block ×5, first 2 shown]
	v_xor_b32_e32 v5, vcc_hi, v4
	v_xor_b32_e32 v4, vcc_lo, v4
	v_and_b32_e32 v0, v0, v5
	v_lshlrev_b32_e32 v5, 24, v37
	v_and_b32_e32 v39, v39, v4
	v_mov_b32_e32 v4, v1
	v_not_b32_e32 v1, v5
	v_cmp_gt_i64_e32 vcc, 0, v[4:5]
	v_ashrrev_i32_e32 v1, 31, v1
	; wave barrier
	s_nop 0
	v_xor_b32_e32 v4, vcc_hi, v1
	v_xor_b32_e32 v5, vcc_lo, v1
	v_and_b32_e32 v1, v0, v4
	v_and_b32_e32 v0, v39, v5
	v_mbcnt_lo_u32_b32 v4, v0, 0
	v_mbcnt_hi_u32_b32 v37, v1, v4
	v_cmp_eq_u32_e32 vcc, 0, v37
	v_cmp_ne_u64_e64 s[0:1], 0, v[0:1]
	s_and_b64 s[4:5], s[0:1], vcc
	v_add_u32_e32 v39, v31, v38
	s_and_saveexec_b64 s[0:1], s[4:5]
	s_cbranch_execz .LBB24_227
; %bb.226:
	v_bcnt_u32_b32 v0, v0, 0
	v_bcnt_u32_b32 v0, v1, v0
	s_waitcnt lgkmcnt(0)
	v_add_u32_e32 v0, v35, v0
	ds_write_b32 v39, v0 offset:16
.LBB24_227:
	s_or_b64 exec, exec, s[0:1]
	s_waitcnt vmcnt(13)
	v_lshrrev_b32_sdwa v0, s88, v22 dst_sel:DWORD dst_unused:UNUSED_PAD src0_sel:DWORD src1_sel:WORD_0
	v_and_b32_e32 v40, s9, v0
	v_mad_u32_u24 v0, v40, 20, v31
	; wave barrier
	ds_read_b32 v38, v0 offset:16
	v_and_b32_e32 v0, 1, v40
	v_mov_b32_e32 v1, 0
	v_lshl_add_u64 v[4:5], v[0:1], 0, -1
	v_cmp_ne_u32_e32 vcc, 0, v0
	v_mul_u32_u24_e32 v41, 20, v40
	s_nop 0
	v_xor_b32_e32 v4, vcc_lo, v4
	v_xor_b32_e32 v0, vcc_hi, v5
	v_and_b32_e32 v42, exec_lo, v4
	v_lshlrev_b32_e32 v5, 30, v40
	v_mov_b32_e32 v4, v1
	v_cmp_gt_i64_e32 vcc, 0, v[4:5]
	v_not_b32_e32 v4, v5
	v_ashrrev_i32_e32 v4, 31, v4
	v_and_b32_e32 v0, exec_hi, v0
	v_xor_b32_e32 v5, vcc_hi, v4
	v_xor_b32_e32 v4, vcc_lo, v4
	v_and_b32_e32 v0, v0, v5
	v_and_b32_e32 v42, v42, v4
	v_lshlrev_b32_e32 v5, 29, v40
	v_mov_b32_e32 v4, v1
	v_cmp_gt_i64_e32 vcc, 0, v[4:5]
	v_not_b32_e32 v4, v5
	v_ashrrev_i32_e32 v4, 31, v4
	v_xor_b32_e32 v5, vcc_hi, v4
	v_xor_b32_e32 v4, vcc_lo, v4
	v_and_b32_e32 v0, v0, v5
	v_and_b32_e32 v42, v42, v4
	v_lshlrev_b32_e32 v5, 28, v40
	v_mov_b32_e32 v4, v1
	v_cmp_gt_i64_e32 vcc, 0, v[4:5]
	v_not_b32_e32 v4, v5
	v_ashrrev_i32_e32 v4, 31, v4
	;; [unrolled: 9-line block ×6, first 2 shown]
	v_xor_b32_e32 v5, vcc_hi, v4
	v_xor_b32_e32 v4, vcc_lo, v4
	v_and_b32_e32 v4, v42, v4
	v_and_b32_e32 v5, v0, v5
	v_mbcnt_lo_u32_b32 v0, v4, 0
	v_mbcnt_hi_u32_b32 v40, v5, v0
	v_cmp_eq_u32_e32 vcc, 0, v40
	v_cmp_ne_u64_e64 s[0:1], 0, v[4:5]
	s_and_b64 s[4:5], s[0:1], vcc
	v_add_u32_e32 v42, v31, v41
	; wave barrier
	s_and_saveexec_b64 s[0:1], s[4:5]
	s_cbranch_execz .LBB24_229
; %bb.228:
	v_bcnt_u32_b32 v0, v4, 0
	v_bcnt_u32_b32 v0, v5, v0
	s_waitcnt lgkmcnt(0)
	v_add_u32_e32 v0, v38, v0
	ds_write_b32 v42, v0 offset:16
.LBB24_229:
	s_or_b64 exec, exec, s[0:1]
	s_waitcnt vmcnt(12)
	v_lshrrev_b32_sdwa v0, s88, v21 dst_sel:DWORD dst_unused:UNUSED_PAD src0_sel:DWORD src1_sel:WORD_0
	v_and_b32_e32 v43, s9, v0
	v_mad_u32_u24 v0, v43, 20, v31
	; wave barrier
	ds_read_b32 v41, v0 offset:16
	v_and_b32_e32 v0, 1, v43
	v_lshl_add_u64 v[4:5], v[0:1], 0, -1
	v_cmp_ne_u32_e32 vcc, 0, v0
	v_mul_u32_u24_e32 v44, 20, v43
	s_nop 0
	v_xor_b32_e32 v4, vcc_lo, v4
	v_xor_b32_e32 v0, vcc_hi, v5
	v_and_b32_e32 v45, exec_lo, v4
	v_lshlrev_b32_e32 v5, 30, v43
	v_mov_b32_e32 v4, v1
	v_cmp_gt_i64_e32 vcc, 0, v[4:5]
	v_not_b32_e32 v4, v5
	v_ashrrev_i32_e32 v4, 31, v4
	v_and_b32_e32 v0, exec_hi, v0
	v_xor_b32_e32 v5, vcc_hi, v4
	v_xor_b32_e32 v4, vcc_lo, v4
	v_and_b32_e32 v0, v0, v5
	v_and_b32_e32 v45, v45, v4
	v_lshlrev_b32_e32 v5, 29, v43
	v_mov_b32_e32 v4, v1
	v_cmp_gt_i64_e32 vcc, 0, v[4:5]
	v_not_b32_e32 v4, v5
	v_ashrrev_i32_e32 v4, 31, v4
	v_xor_b32_e32 v5, vcc_hi, v4
	v_xor_b32_e32 v4, vcc_lo, v4
	v_and_b32_e32 v0, v0, v5
	v_and_b32_e32 v45, v45, v4
	v_lshlrev_b32_e32 v5, 28, v43
	v_mov_b32_e32 v4, v1
	v_cmp_gt_i64_e32 vcc, 0, v[4:5]
	v_not_b32_e32 v4, v5
	v_ashrrev_i32_e32 v4, 31, v4
	;; [unrolled: 9-line block ×5, first 2 shown]
	v_xor_b32_e32 v5, vcc_hi, v4
	v_xor_b32_e32 v4, vcc_lo, v4
	v_and_b32_e32 v0, v0, v5
	v_lshlrev_b32_e32 v5, 24, v43
	v_and_b32_e32 v45, v45, v4
	v_mov_b32_e32 v4, v1
	v_not_b32_e32 v1, v5
	v_cmp_gt_i64_e32 vcc, 0, v[4:5]
	v_ashrrev_i32_e32 v1, 31, v1
	; wave barrier
	s_nop 0
	v_xor_b32_e32 v4, vcc_hi, v1
	v_xor_b32_e32 v5, vcc_lo, v1
	v_and_b32_e32 v1, v0, v4
	v_and_b32_e32 v0, v45, v5
	v_mbcnt_lo_u32_b32 v4, v0, 0
	v_mbcnt_hi_u32_b32 v43, v1, v4
	v_cmp_eq_u32_e32 vcc, 0, v43
	v_cmp_ne_u64_e64 s[0:1], 0, v[0:1]
	s_and_b64 s[4:5], s[0:1], vcc
	v_add_u32_e32 v45, v31, v44
	s_and_saveexec_b64 s[0:1], s[4:5]
	s_cbranch_execz .LBB24_231
; %bb.230:
	v_bcnt_u32_b32 v0, v0, 0
	v_bcnt_u32_b32 v0, v1, v0
	s_waitcnt lgkmcnt(0)
	v_add_u32_e32 v0, v41, v0
	ds_write_b32 v45, v0 offset:16
.LBB24_231:
	s_or_b64 exec, exec, s[0:1]
	s_waitcnt vmcnt(11)
	v_lshrrev_b32_sdwa v0, s88, v20 dst_sel:DWORD dst_unused:UNUSED_PAD src0_sel:DWORD src1_sel:WORD_0
	v_and_b32_e32 v46, s9, v0
	v_mad_u32_u24 v0, v46, 20, v31
	; wave barrier
	ds_read_b32 v44, v0 offset:16
	v_and_b32_e32 v0, 1, v46
	v_mov_b32_e32 v1, 0
	v_lshl_add_u64 v[4:5], v[0:1], 0, -1
	v_cmp_ne_u32_e32 vcc, 0, v0
	v_mul_u32_u24_e32 v47, 20, v46
	s_nop 0
	v_xor_b32_e32 v4, vcc_lo, v4
	v_xor_b32_e32 v0, vcc_hi, v5
	v_and_b32_e32 v48, exec_lo, v4
	v_lshlrev_b32_e32 v5, 30, v46
	v_mov_b32_e32 v4, v1
	v_cmp_gt_i64_e32 vcc, 0, v[4:5]
	v_not_b32_e32 v4, v5
	v_ashrrev_i32_e32 v4, 31, v4
	v_and_b32_e32 v0, exec_hi, v0
	v_xor_b32_e32 v5, vcc_hi, v4
	v_xor_b32_e32 v4, vcc_lo, v4
	v_and_b32_e32 v0, v0, v5
	v_and_b32_e32 v48, v48, v4
	v_lshlrev_b32_e32 v5, 29, v46
	v_mov_b32_e32 v4, v1
	v_cmp_gt_i64_e32 vcc, 0, v[4:5]
	v_not_b32_e32 v4, v5
	v_ashrrev_i32_e32 v4, 31, v4
	v_xor_b32_e32 v5, vcc_hi, v4
	v_xor_b32_e32 v4, vcc_lo, v4
	v_and_b32_e32 v0, v0, v5
	v_and_b32_e32 v48, v48, v4
	v_lshlrev_b32_e32 v5, 28, v46
	v_mov_b32_e32 v4, v1
	v_cmp_gt_i64_e32 vcc, 0, v[4:5]
	v_not_b32_e32 v4, v5
	v_ashrrev_i32_e32 v4, 31, v4
	;; [unrolled: 9-line block ×6, first 2 shown]
	v_xor_b32_e32 v5, vcc_hi, v4
	v_xor_b32_e32 v4, vcc_lo, v4
	v_and_b32_e32 v4, v48, v4
	v_and_b32_e32 v5, v0, v5
	v_mbcnt_lo_u32_b32 v0, v4, 0
	v_mbcnt_hi_u32_b32 v46, v5, v0
	v_cmp_eq_u32_e32 vcc, 0, v46
	v_cmp_ne_u64_e64 s[0:1], 0, v[4:5]
	s_and_b64 s[4:5], s[0:1], vcc
	v_add_u32_e32 v48, v31, v47
	; wave barrier
	s_and_saveexec_b64 s[0:1], s[4:5]
	s_cbranch_execz .LBB24_233
; %bb.232:
	v_bcnt_u32_b32 v0, v4, 0
	v_bcnt_u32_b32 v0, v5, v0
	s_waitcnt lgkmcnt(0)
	v_add_u32_e32 v0, v44, v0
	ds_write_b32 v48, v0 offset:16
.LBB24_233:
	s_or_b64 exec, exec, s[0:1]
	s_waitcnt vmcnt(10)
	v_lshrrev_b32_sdwa v0, s88, v19 dst_sel:DWORD dst_unused:UNUSED_PAD src0_sel:DWORD src1_sel:WORD_0
	v_and_b32_e32 v49, s9, v0
	v_mad_u32_u24 v0, v49, 20, v31
	; wave barrier
	ds_read_b32 v47, v0 offset:16
	v_and_b32_e32 v0, 1, v49
	v_lshl_add_u64 v[4:5], v[0:1], 0, -1
	v_cmp_ne_u32_e32 vcc, 0, v0
	v_mul_u32_u24_e32 v50, 20, v49
	s_nop 0
	v_xor_b32_e32 v4, vcc_lo, v4
	v_xor_b32_e32 v0, vcc_hi, v5
	v_and_b32_e32 v51, exec_lo, v4
	v_lshlrev_b32_e32 v5, 30, v49
	v_mov_b32_e32 v4, v1
	v_cmp_gt_i64_e32 vcc, 0, v[4:5]
	v_not_b32_e32 v4, v5
	v_ashrrev_i32_e32 v4, 31, v4
	v_and_b32_e32 v0, exec_hi, v0
	v_xor_b32_e32 v5, vcc_hi, v4
	v_xor_b32_e32 v4, vcc_lo, v4
	v_and_b32_e32 v0, v0, v5
	v_and_b32_e32 v51, v51, v4
	v_lshlrev_b32_e32 v5, 29, v49
	v_mov_b32_e32 v4, v1
	v_cmp_gt_i64_e32 vcc, 0, v[4:5]
	v_not_b32_e32 v4, v5
	v_ashrrev_i32_e32 v4, 31, v4
	v_xor_b32_e32 v5, vcc_hi, v4
	v_xor_b32_e32 v4, vcc_lo, v4
	v_and_b32_e32 v0, v0, v5
	v_and_b32_e32 v51, v51, v4
	v_lshlrev_b32_e32 v5, 28, v49
	v_mov_b32_e32 v4, v1
	v_cmp_gt_i64_e32 vcc, 0, v[4:5]
	v_not_b32_e32 v4, v5
	v_ashrrev_i32_e32 v4, 31, v4
	v_xor_b32_e32 v5, vcc_hi, v4
	v_xor_b32_e32 v4, vcc_lo, v4
	v_and_b32_e32 v0, v0, v5
	v_and_b32_e32 v51, v51, v4
	v_lshlrev_b32_e32 v5, 27, v49
	v_mov_b32_e32 v4, v1
	v_cmp_gt_i64_e32 vcc, 0, v[4:5]
	v_not_b32_e32 v4, v5
	v_ashrrev_i32_e32 v4, 31, v4
	v_xor_b32_e32 v5, vcc_hi, v4
	v_xor_b32_e32 v4, vcc_lo, v4
	v_and_b32_e32 v0, v0, v5
	v_and_b32_e32 v51, v51, v4
	v_lshlrev_b32_e32 v5, 26, v49
	v_mov_b32_e32 v4, v1
	v_cmp_gt_i64_e32 vcc, 0, v[4:5]
	v_not_b32_e32 v4, v5
	v_ashrrev_i32_e32 v4, 31, v4
	v_xor_b32_e32 v5, vcc_hi, v4
	v_xor_b32_e32 v4, vcc_lo, v4
	v_and_b32_e32 v0, v0, v5
	v_and_b32_e32 v51, v51, v4
	v_lshlrev_b32_e32 v5, 25, v49
	v_mov_b32_e32 v4, v1
	v_cmp_gt_i64_e32 vcc, 0, v[4:5]
	v_not_b32_e32 v4, v5
	v_ashrrev_i32_e32 v4, 31, v4
	v_xor_b32_e32 v5, vcc_hi, v4
	v_xor_b32_e32 v4, vcc_lo, v4
	v_and_b32_e32 v0, v0, v5
	v_lshlrev_b32_e32 v5, 24, v49
	v_and_b32_e32 v51, v51, v4
	v_mov_b32_e32 v4, v1
	v_not_b32_e32 v1, v5
	v_cmp_gt_i64_e32 vcc, 0, v[4:5]
	v_ashrrev_i32_e32 v1, 31, v1
	; wave barrier
	s_nop 0
	v_xor_b32_e32 v4, vcc_hi, v1
	v_xor_b32_e32 v5, vcc_lo, v1
	v_and_b32_e32 v1, v0, v4
	v_and_b32_e32 v0, v51, v5
	v_mbcnt_lo_u32_b32 v4, v0, 0
	v_mbcnt_hi_u32_b32 v49, v1, v4
	v_cmp_eq_u32_e32 vcc, 0, v49
	v_cmp_ne_u64_e64 s[0:1], 0, v[0:1]
	s_and_b64 s[4:5], s[0:1], vcc
	v_add_u32_e32 v51, v31, v50
	s_and_saveexec_b64 s[0:1], s[4:5]
	s_cbranch_execz .LBB24_235
; %bb.234:
	v_bcnt_u32_b32 v0, v0, 0
	v_bcnt_u32_b32 v0, v1, v0
	s_waitcnt lgkmcnt(0)
	v_add_u32_e32 v0, v47, v0
	ds_write_b32 v51, v0 offset:16
.LBB24_235:
	s_or_b64 exec, exec, s[0:1]
	s_waitcnt vmcnt(9)
	v_lshrrev_b32_sdwa v0, s88, v17 dst_sel:DWORD dst_unused:UNUSED_PAD src0_sel:DWORD src1_sel:WORD_0
	v_and_b32_e32 v52, s9, v0
	v_mad_u32_u24 v0, v52, 20, v31
	; wave barrier
	ds_read_b32 v50, v0 offset:16
	v_and_b32_e32 v0, 1, v52
	v_mov_b32_e32 v1, 0
	v_lshl_add_u64 v[4:5], v[0:1], 0, -1
	v_cmp_ne_u32_e32 vcc, 0, v0
	v_mul_u32_u24_e32 v53, 20, v52
	s_nop 0
	v_xor_b32_e32 v4, vcc_lo, v4
	v_xor_b32_e32 v0, vcc_hi, v5
	v_and_b32_e32 v54, exec_lo, v4
	v_lshlrev_b32_e32 v5, 30, v52
	v_mov_b32_e32 v4, v1
	v_cmp_gt_i64_e32 vcc, 0, v[4:5]
	v_not_b32_e32 v4, v5
	v_ashrrev_i32_e32 v4, 31, v4
	v_and_b32_e32 v0, exec_hi, v0
	v_xor_b32_e32 v5, vcc_hi, v4
	v_xor_b32_e32 v4, vcc_lo, v4
	v_and_b32_e32 v0, v0, v5
	v_and_b32_e32 v54, v54, v4
	v_lshlrev_b32_e32 v5, 29, v52
	v_mov_b32_e32 v4, v1
	v_cmp_gt_i64_e32 vcc, 0, v[4:5]
	v_not_b32_e32 v4, v5
	v_ashrrev_i32_e32 v4, 31, v4
	v_xor_b32_e32 v5, vcc_hi, v4
	v_xor_b32_e32 v4, vcc_lo, v4
	v_and_b32_e32 v0, v0, v5
	v_and_b32_e32 v54, v54, v4
	v_lshlrev_b32_e32 v5, 28, v52
	v_mov_b32_e32 v4, v1
	v_cmp_gt_i64_e32 vcc, 0, v[4:5]
	v_not_b32_e32 v4, v5
	v_ashrrev_i32_e32 v4, 31, v4
	;; [unrolled: 9-line block ×6, first 2 shown]
	v_xor_b32_e32 v5, vcc_hi, v4
	v_xor_b32_e32 v4, vcc_lo, v4
	v_and_b32_e32 v4, v54, v4
	v_and_b32_e32 v5, v0, v5
	v_mbcnt_lo_u32_b32 v0, v4, 0
	v_mbcnt_hi_u32_b32 v52, v5, v0
	v_cmp_eq_u32_e32 vcc, 0, v52
	v_cmp_ne_u64_e64 s[0:1], 0, v[4:5]
	s_and_b64 s[4:5], s[0:1], vcc
	v_add_u32_e32 v54, v31, v53
	; wave barrier
	s_and_saveexec_b64 s[0:1], s[4:5]
	s_cbranch_execz .LBB24_237
; %bb.236:
	v_bcnt_u32_b32 v0, v4, 0
	v_bcnt_u32_b32 v0, v5, v0
	s_waitcnt lgkmcnt(0)
	v_add_u32_e32 v0, v50, v0
	ds_write_b32 v54, v0 offset:16
.LBB24_237:
	s_or_b64 exec, exec, s[0:1]
	s_waitcnt vmcnt(8)
	v_lshrrev_b32_sdwa v0, s88, v16 dst_sel:DWORD dst_unused:UNUSED_PAD src0_sel:DWORD src1_sel:WORD_0
	v_and_b32_e32 v55, s9, v0
	v_mad_u32_u24 v0, v55, 20, v31
	; wave barrier
	ds_read_b32 v53, v0 offset:16
	v_and_b32_e32 v0, 1, v55
	v_lshl_add_u64 v[4:5], v[0:1], 0, -1
	v_cmp_ne_u32_e32 vcc, 0, v0
	v_mul_u32_u24_e32 v56, 20, v55
	s_nop 0
	v_xor_b32_e32 v4, vcc_lo, v4
	v_xor_b32_e32 v0, vcc_hi, v5
	v_and_b32_e32 v57, exec_lo, v4
	v_lshlrev_b32_e32 v5, 30, v55
	v_mov_b32_e32 v4, v1
	v_cmp_gt_i64_e32 vcc, 0, v[4:5]
	v_not_b32_e32 v4, v5
	v_ashrrev_i32_e32 v4, 31, v4
	v_and_b32_e32 v0, exec_hi, v0
	v_xor_b32_e32 v5, vcc_hi, v4
	v_xor_b32_e32 v4, vcc_lo, v4
	v_and_b32_e32 v0, v0, v5
	v_and_b32_e32 v57, v57, v4
	v_lshlrev_b32_e32 v5, 29, v55
	v_mov_b32_e32 v4, v1
	v_cmp_gt_i64_e32 vcc, 0, v[4:5]
	v_not_b32_e32 v4, v5
	v_ashrrev_i32_e32 v4, 31, v4
	v_xor_b32_e32 v5, vcc_hi, v4
	v_xor_b32_e32 v4, vcc_lo, v4
	v_and_b32_e32 v0, v0, v5
	v_and_b32_e32 v57, v57, v4
	v_lshlrev_b32_e32 v5, 28, v55
	v_mov_b32_e32 v4, v1
	v_cmp_gt_i64_e32 vcc, 0, v[4:5]
	v_not_b32_e32 v4, v5
	v_ashrrev_i32_e32 v4, 31, v4
	;; [unrolled: 9-line block ×5, first 2 shown]
	v_xor_b32_e32 v5, vcc_hi, v4
	v_xor_b32_e32 v4, vcc_lo, v4
	v_and_b32_e32 v0, v0, v5
	v_lshlrev_b32_e32 v5, 24, v55
	v_and_b32_e32 v57, v57, v4
	v_mov_b32_e32 v4, v1
	v_not_b32_e32 v1, v5
	v_cmp_gt_i64_e32 vcc, 0, v[4:5]
	v_ashrrev_i32_e32 v1, 31, v1
	; wave barrier
	s_nop 0
	v_xor_b32_e32 v4, vcc_hi, v1
	v_xor_b32_e32 v5, vcc_lo, v1
	v_and_b32_e32 v1, v0, v4
	v_and_b32_e32 v0, v57, v5
	v_mbcnt_lo_u32_b32 v4, v0, 0
	v_mbcnt_hi_u32_b32 v55, v1, v4
	v_cmp_eq_u32_e32 vcc, 0, v55
	v_cmp_ne_u64_e64 s[0:1], 0, v[0:1]
	s_and_b64 s[4:5], s[0:1], vcc
	v_add_u32_e32 v57, v31, v56
	s_and_saveexec_b64 s[0:1], s[4:5]
	s_cbranch_execz .LBB24_239
; %bb.238:
	v_bcnt_u32_b32 v0, v0, 0
	v_bcnt_u32_b32 v0, v1, v0
	s_waitcnt lgkmcnt(0)
	v_add_u32_e32 v0, v53, v0
	ds_write_b32 v57, v0 offset:16
.LBB24_239:
	s_or_b64 exec, exec, s[0:1]
	s_waitcnt vmcnt(7)
	v_lshrrev_b32_sdwa v0, s88, v15 dst_sel:DWORD dst_unused:UNUSED_PAD src0_sel:DWORD src1_sel:WORD_0
	v_and_b32_e32 v58, s9, v0
	v_mad_u32_u24 v0, v58, 20, v31
	; wave barrier
	ds_read_b32 v56, v0 offset:16
	v_and_b32_e32 v0, 1, v58
	v_mov_b32_e32 v1, 0
	v_lshl_add_u64 v[4:5], v[0:1], 0, -1
	v_cmp_ne_u32_e32 vcc, 0, v0
	v_mul_u32_u24_e32 v59, 20, v58
	s_nop 0
	v_xor_b32_e32 v4, vcc_lo, v4
	v_xor_b32_e32 v0, vcc_hi, v5
	v_and_b32_e32 v60, exec_lo, v4
	v_lshlrev_b32_e32 v5, 30, v58
	v_mov_b32_e32 v4, v1
	v_cmp_gt_i64_e32 vcc, 0, v[4:5]
	v_not_b32_e32 v4, v5
	v_ashrrev_i32_e32 v4, 31, v4
	v_and_b32_e32 v0, exec_hi, v0
	v_xor_b32_e32 v5, vcc_hi, v4
	v_xor_b32_e32 v4, vcc_lo, v4
	v_and_b32_e32 v0, v0, v5
	v_and_b32_e32 v60, v60, v4
	v_lshlrev_b32_e32 v5, 29, v58
	v_mov_b32_e32 v4, v1
	v_cmp_gt_i64_e32 vcc, 0, v[4:5]
	v_not_b32_e32 v4, v5
	v_ashrrev_i32_e32 v4, 31, v4
	v_xor_b32_e32 v5, vcc_hi, v4
	v_xor_b32_e32 v4, vcc_lo, v4
	v_and_b32_e32 v0, v0, v5
	v_and_b32_e32 v60, v60, v4
	v_lshlrev_b32_e32 v5, 28, v58
	v_mov_b32_e32 v4, v1
	v_cmp_gt_i64_e32 vcc, 0, v[4:5]
	v_not_b32_e32 v4, v5
	v_ashrrev_i32_e32 v4, 31, v4
	;; [unrolled: 9-line block ×6, first 2 shown]
	v_xor_b32_e32 v5, vcc_hi, v4
	v_xor_b32_e32 v4, vcc_lo, v4
	v_and_b32_e32 v4, v60, v4
	v_and_b32_e32 v5, v0, v5
	v_mbcnt_lo_u32_b32 v0, v4, 0
	v_mbcnt_hi_u32_b32 v58, v5, v0
	v_cmp_eq_u32_e32 vcc, 0, v58
	v_cmp_ne_u64_e64 s[0:1], 0, v[4:5]
	s_and_b64 s[4:5], s[0:1], vcc
	v_add_u32_e32 v60, v31, v59
	; wave barrier
	s_and_saveexec_b64 s[0:1], s[4:5]
	s_cbranch_execz .LBB24_241
; %bb.240:
	v_bcnt_u32_b32 v0, v4, 0
	v_bcnt_u32_b32 v0, v5, v0
	s_waitcnt lgkmcnt(0)
	v_add_u32_e32 v0, v56, v0
	ds_write_b32 v60, v0 offset:16
.LBB24_241:
	s_or_b64 exec, exec, s[0:1]
	s_waitcnt vmcnt(6)
	v_lshrrev_b32_sdwa v0, s88, v14 dst_sel:DWORD dst_unused:UNUSED_PAD src0_sel:DWORD src1_sel:WORD_0
	v_and_b32_e32 v61, s9, v0
	v_mad_u32_u24 v0, v61, 20, v31
	; wave barrier
	ds_read_b32 v59, v0 offset:16
	v_and_b32_e32 v0, 1, v61
	v_lshl_add_u64 v[4:5], v[0:1], 0, -1
	v_cmp_ne_u32_e32 vcc, 0, v0
	v_mul_u32_u24_e32 v62, 20, v61
	s_nop 0
	v_xor_b32_e32 v4, vcc_lo, v4
	v_xor_b32_e32 v0, vcc_hi, v5
	v_and_b32_e32 v63, exec_lo, v4
	v_lshlrev_b32_e32 v5, 30, v61
	v_mov_b32_e32 v4, v1
	v_cmp_gt_i64_e32 vcc, 0, v[4:5]
	v_not_b32_e32 v4, v5
	v_ashrrev_i32_e32 v4, 31, v4
	v_and_b32_e32 v0, exec_hi, v0
	v_xor_b32_e32 v5, vcc_hi, v4
	v_xor_b32_e32 v4, vcc_lo, v4
	v_and_b32_e32 v0, v0, v5
	v_and_b32_e32 v63, v63, v4
	v_lshlrev_b32_e32 v5, 29, v61
	v_mov_b32_e32 v4, v1
	v_cmp_gt_i64_e32 vcc, 0, v[4:5]
	v_not_b32_e32 v4, v5
	v_ashrrev_i32_e32 v4, 31, v4
	v_xor_b32_e32 v5, vcc_hi, v4
	v_xor_b32_e32 v4, vcc_lo, v4
	v_and_b32_e32 v0, v0, v5
	v_and_b32_e32 v63, v63, v4
	v_lshlrev_b32_e32 v5, 28, v61
	v_mov_b32_e32 v4, v1
	v_cmp_gt_i64_e32 vcc, 0, v[4:5]
	v_not_b32_e32 v4, v5
	v_ashrrev_i32_e32 v4, 31, v4
	;; [unrolled: 9-line block ×5, first 2 shown]
	v_xor_b32_e32 v5, vcc_hi, v4
	v_xor_b32_e32 v4, vcc_lo, v4
	v_and_b32_e32 v0, v0, v5
	v_lshlrev_b32_e32 v5, 24, v61
	v_and_b32_e32 v63, v63, v4
	v_mov_b32_e32 v4, v1
	v_not_b32_e32 v1, v5
	v_cmp_gt_i64_e32 vcc, 0, v[4:5]
	v_ashrrev_i32_e32 v1, 31, v1
	; wave barrier
	s_nop 0
	v_xor_b32_e32 v4, vcc_hi, v1
	v_xor_b32_e32 v5, vcc_lo, v1
	v_and_b32_e32 v1, v0, v4
	v_and_b32_e32 v0, v63, v5
	v_mbcnt_lo_u32_b32 v4, v0, 0
	v_mbcnt_hi_u32_b32 v61, v1, v4
	v_cmp_eq_u32_e32 vcc, 0, v61
	v_cmp_ne_u64_e64 s[0:1], 0, v[0:1]
	s_and_b64 s[4:5], s[0:1], vcc
	v_add_u32_e32 v63, v31, v62
	s_and_saveexec_b64 s[0:1], s[4:5]
	s_cbranch_execz .LBB24_243
; %bb.242:
	v_bcnt_u32_b32 v0, v0, 0
	v_bcnt_u32_b32 v0, v1, v0
	s_waitcnt lgkmcnt(0)
	v_add_u32_e32 v0, v59, v0
	ds_write_b32 v63, v0 offset:16
.LBB24_243:
	s_or_b64 exec, exec, s[0:1]
	s_waitcnt vmcnt(5)
	v_lshrrev_b32_sdwa v0, s88, v13 dst_sel:DWORD dst_unused:UNUSED_PAD src0_sel:DWORD src1_sel:WORD_0
	v_and_b32_e32 v64, s9, v0
	v_mad_u32_u24 v0, v64, 20, v31
	; wave barrier
	ds_read_b32 v62, v0 offset:16
	v_and_b32_e32 v0, 1, v64
	v_mov_b32_e32 v1, 0
	v_lshl_add_u64 v[4:5], v[0:1], 0, -1
	v_cmp_ne_u32_e32 vcc, 0, v0
	v_mul_u32_u24_e32 v65, 20, v64
	s_nop 0
	v_xor_b32_e32 v4, vcc_lo, v4
	v_xor_b32_e32 v0, vcc_hi, v5
	v_and_b32_e32 v66, exec_lo, v4
	v_lshlrev_b32_e32 v5, 30, v64
	v_mov_b32_e32 v4, v1
	v_cmp_gt_i64_e32 vcc, 0, v[4:5]
	v_not_b32_e32 v4, v5
	v_ashrrev_i32_e32 v4, 31, v4
	v_and_b32_e32 v0, exec_hi, v0
	v_xor_b32_e32 v5, vcc_hi, v4
	v_xor_b32_e32 v4, vcc_lo, v4
	v_and_b32_e32 v0, v0, v5
	v_and_b32_e32 v66, v66, v4
	v_lshlrev_b32_e32 v5, 29, v64
	v_mov_b32_e32 v4, v1
	v_cmp_gt_i64_e32 vcc, 0, v[4:5]
	v_not_b32_e32 v4, v5
	v_ashrrev_i32_e32 v4, 31, v4
	v_xor_b32_e32 v5, vcc_hi, v4
	v_xor_b32_e32 v4, vcc_lo, v4
	v_and_b32_e32 v0, v0, v5
	v_and_b32_e32 v66, v66, v4
	v_lshlrev_b32_e32 v5, 28, v64
	v_mov_b32_e32 v4, v1
	v_cmp_gt_i64_e32 vcc, 0, v[4:5]
	v_not_b32_e32 v4, v5
	v_ashrrev_i32_e32 v4, 31, v4
	;; [unrolled: 9-line block ×6, first 2 shown]
	v_xor_b32_e32 v5, vcc_hi, v4
	v_xor_b32_e32 v4, vcc_lo, v4
	v_and_b32_e32 v4, v66, v4
	v_and_b32_e32 v5, v0, v5
	v_mbcnt_lo_u32_b32 v0, v4, 0
	v_mbcnt_hi_u32_b32 v64, v5, v0
	v_cmp_eq_u32_e32 vcc, 0, v64
	v_cmp_ne_u64_e64 s[0:1], 0, v[4:5]
	s_and_b64 s[4:5], s[0:1], vcc
	v_add_u32_e32 v66, v31, v65
	; wave barrier
	s_and_saveexec_b64 s[0:1], s[4:5]
	s_cbranch_execz .LBB24_245
; %bb.244:
	v_bcnt_u32_b32 v0, v4, 0
	v_bcnt_u32_b32 v0, v5, v0
	s_waitcnt lgkmcnt(0)
	v_add_u32_e32 v0, v62, v0
	ds_write_b32 v66, v0 offset:16
.LBB24_245:
	s_or_b64 exec, exec, s[0:1]
	s_waitcnt vmcnt(4)
	v_lshrrev_b32_sdwa v0, s88, v11 dst_sel:DWORD dst_unused:UNUSED_PAD src0_sel:DWORD src1_sel:WORD_0
	v_and_b32_e32 v67, s9, v0
	v_mad_u32_u24 v0, v67, 20, v31
	; wave barrier
	ds_read_b32 v65, v0 offset:16
	v_and_b32_e32 v0, 1, v67
	v_lshl_add_u64 v[4:5], v[0:1], 0, -1
	v_cmp_ne_u32_e32 vcc, 0, v0
	v_mul_u32_u24_e32 v68, 20, v67
	s_nop 0
	v_xor_b32_e32 v4, vcc_lo, v4
	v_xor_b32_e32 v0, vcc_hi, v5
	v_and_b32_e32 v69, exec_lo, v4
	v_lshlrev_b32_e32 v5, 30, v67
	v_mov_b32_e32 v4, v1
	v_cmp_gt_i64_e32 vcc, 0, v[4:5]
	v_not_b32_e32 v4, v5
	v_ashrrev_i32_e32 v4, 31, v4
	v_and_b32_e32 v0, exec_hi, v0
	v_xor_b32_e32 v5, vcc_hi, v4
	v_xor_b32_e32 v4, vcc_lo, v4
	v_and_b32_e32 v0, v0, v5
	v_and_b32_e32 v69, v69, v4
	v_lshlrev_b32_e32 v5, 29, v67
	v_mov_b32_e32 v4, v1
	v_cmp_gt_i64_e32 vcc, 0, v[4:5]
	v_not_b32_e32 v4, v5
	v_ashrrev_i32_e32 v4, 31, v4
	v_xor_b32_e32 v5, vcc_hi, v4
	v_xor_b32_e32 v4, vcc_lo, v4
	v_and_b32_e32 v0, v0, v5
	v_and_b32_e32 v69, v69, v4
	v_lshlrev_b32_e32 v5, 28, v67
	v_mov_b32_e32 v4, v1
	v_cmp_gt_i64_e32 vcc, 0, v[4:5]
	v_not_b32_e32 v4, v5
	v_ashrrev_i32_e32 v4, 31, v4
	;; [unrolled: 9-line block ×5, first 2 shown]
	v_xor_b32_e32 v5, vcc_hi, v4
	v_xor_b32_e32 v4, vcc_lo, v4
	v_and_b32_e32 v0, v0, v5
	v_lshlrev_b32_e32 v5, 24, v67
	v_and_b32_e32 v69, v69, v4
	v_mov_b32_e32 v4, v1
	v_not_b32_e32 v1, v5
	v_cmp_gt_i64_e32 vcc, 0, v[4:5]
	v_ashrrev_i32_e32 v1, 31, v1
	; wave barrier
	s_nop 0
	v_xor_b32_e32 v4, vcc_hi, v1
	v_xor_b32_e32 v5, vcc_lo, v1
	v_and_b32_e32 v1, v0, v4
	v_and_b32_e32 v0, v69, v5
	v_mbcnt_lo_u32_b32 v4, v0, 0
	v_mbcnt_hi_u32_b32 v67, v1, v4
	v_cmp_eq_u32_e32 vcc, 0, v67
	v_cmp_ne_u64_e64 s[0:1], 0, v[0:1]
	s_and_b64 s[4:5], s[0:1], vcc
	v_add_u32_e32 v69, v31, v68
	s_and_saveexec_b64 s[0:1], s[4:5]
	s_cbranch_execz .LBB24_247
; %bb.246:
	v_bcnt_u32_b32 v0, v0, 0
	v_bcnt_u32_b32 v0, v1, v0
	s_waitcnt lgkmcnt(0)
	v_add_u32_e32 v0, v65, v0
	ds_write_b32 v69, v0 offset:16
.LBB24_247:
	s_or_b64 exec, exec, s[0:1]
	s_waitcnt vmcnt(3)
	v_lshrrev_b32_sdwa v0, s88, v10 dst_sel:DWORD dst_unused:UNUSED_PAD src0_sel:DWORD src1_sel:WORD_0
	v_and_b32_e32 v70, s9, v0
	v_mad_u32_u24 v0, v70, 20, v31
	; wave barrier
	ds_read_b32 v68, v0 offset:16
	v_and_b32_e32 v0, 1, v70
	v_mov_b32_e32 v1, 0
	v_lshl_add_u64 v[4:5], v[0:1], 0, -1
	v_cmp_ne_u32_e32 vcc, 0, v0
	v_mul_u32_u24_e32 v71, 20, v70
	s_nop 0
	v_xor_b32_e32 v4, vcc_lo, v4
	v_xor_b32_e32 v0, vcc_hi, v5
	v_and_b32_e32 v72, exec_lo, v4
	v_lshlrev_b32_e32 v5, 30, v70
	v_mov_b32_e32 v4, v1
	v_cmp_gt_i64_e32 vcc, 0, v[4:5]
	v_not_b32_e32 v4, v5
	v_ashrrev_i32_e32 v4, 31, v4
	v_and_b32_e32 v0, exec_hi, v0
	v_xor_b32_e32 v5, vcc_hi, v4
	v_xor_b32_e32 v4, vcc_lo, v4
	v_and_b32_e32 v0, v0, v5
	v_and_b32_e32 v72, v72, v4
	v_lshlrev_b32_e32 v5, 29, v70
	v_mov_b32_e32 v4, v1
	v_cmp_gt_i64_e32 vcc, 0, v[4:5]
	v_not_b32_e32 v4, v5
	v_ashrrev_i32_e32 v4, 31, v4
	v_xor_b32_e32 v5, vcc_hi, v4
	v_xor_b32_e32 v4, vcc_lo, v4
	v_and_b32_e32 v0, v0, v5
	v_and_b32_e32 v72, v72, v4
	v_lshlrev_b32_e32 v5, 28, v70
	v_mov_b32_e32 v4, v1
	v_cmp_gt_i64_e32 vcc, 0, v[4:5]
	v_not_b32_e32 v4, v5
	v_ashrrev_i32_e32 v4, 31, v4
	;; [unrolled: 9-line block ×6, first 2 shown]
	v_xor_b32_e32 v5, vcc_hi, v4
	v_xor_b32_e32 v4, vcc_lo, v4
	v_and_b32_e32 v4, v72, v4
	v_and_b32_e32 v5, v0, v5
	v_mbcnt_lo_u32_b32 v0, v4, 0
	v_mbcnt_hi_u32_b32 v70, v5, v0
	v_cmp_eq_u32_e32 vcc, 0, v70
	v_cmp_ne_u64_e64 s[0:1], 0, v[4:5]
	s_and_b64 s[4:5], s[0:1], vcc
	v_add_u32_e32 v72, v31, v71
	; wave barrier
	s_and_saveexec_b64 s[0:1], s[4:5]
	s_cbranch_execz .LBB24_249
; %bb.248:
	v_bcnt_u32_b32 v0, v4, 0
	v_bcnt_u32_b32 v0, v5, v0
	s_waitcnt lgkmcnt(0)
	v_add_u32_e32 v0, v68, v0
	ds_write_b32 v72, v0 offset:16
.LBB24_249:
	s_or_b64 exec, exec, s[0:1]
	s_waitcnt vmcnt(2)
	v_lshrrev_b32_sdwa v0, s88, v9 dst_sel:DWORD dst_unused:UNUSED_PAD src0_sel:DWORD src1_sel:WORD_0
	v_and_b32_e32 v73, s9, v0
	v_mad_u32_u24 v0, v73, 20, v31
	; wave barrier
	ds_read_b32 v71, v0 offset:16
	v_and_b32_e32 v0, 1, v73
	v_lshl_add_u64 v[4:5], v[0:1], 0, -1
	v_cmp_ne_u32_e32 vcc, 0, v0
	v_mul_u32_u24_e32 v74, 20, v73
	s_nop 0
	v_xor_b32_e32 v4, vcc_lo, v4
	v_xor_b32_e32 v0, vcc_hi, v5
	v_and_b32_e32 v75, exec_lo, v4
	v_lshlrev_b32_e32 v5, 30, v73
	v_mov_b32_e32 v4, v1
	v_cmp_gt_i64_e32 vcc, 0, v[4:5]
	v_not_b32_e32 v4, v5
	v_ashrrev_i32_e32 v4, 31, v4
	v_and_b32_e32 v0, exec_hi, v0
	v_xor_b32_e32 v5, vcc_hi, v4
	v_xor_b32_e32 v4, vcc_lo, v4
	v_and_b32_e32 v0, v0, v5
	v_and_b32_e32 v75, v75, v4
	v_lshlrev_b32_e32 v5, 29, v73
	v_mov_b32_e32 v4, v1
	v_cmp_gt_i64_e32 vcc, 0, v[4:5]
	v_not_b32_e32 v4, v5
	v_ashrrev_i32_e32 v4, 31, v4
	v_xor_b32_e32 v5, vcc_hi, v4
	v_xor_b32_e32 v4, vcc_lo, v4
	v_and_b32_e32 v0, v0, v5
	v_and_b32_e32 v75, v75, v4
	v_lshlrev_b32_e32 v5, 28, v73
	v_mov_b32_e32 v4, v1
	v_cmp_gt_i64_e32 vcc, 0, v[4:5]
	v_not_b32_e32 v4, v5
	v_ashrrev_i32_e32 v4, 31, v4
	;; [unrolled: 9-line block ×5, first 2 shown]
	v_xor_b32_e32 v5, vcc_hi, v4
	v_xor_b32_e32 v4, vcc_lo, v4
	v_and_b32_e32 v0, v0, v5
	v_lshlrev_b32_e32 v5, 24, v73
	v_and_b32_e32 v75, v75, v4
	v_mov_b32_e32 v4, v1
	v_not_b32_e32 v1, v5
	v_cmp_gt_i64_e32 vcc, 0, v[4:5]
	v_ashrrev_i32_e32 v1, 31, v1
	; wave barrier
	s_nop 0
	v_xor_b32_e32 v4, vcc_hi, v1
	v_xor_b32_e32 v5, vcc_lo, v1
	v_and_b32_e32 v1, v0, v4
	v_and_b32_e32 v0, v75, v5
	v_mbcnt_lo_u32_b32 v4, v0, 0
	v_mbcnt_hi_u32_b32 v73, v1, v4
	v_cmp_eq_u32_e32 vcc, 0, v73
	v_cmp_ne_u64_e64 s[0:1], 0, v[0:1]
	s_and_b64 s[4:5], s[0:1], vcc
	v_add_u32_e32 v75, v31, v74
	s_and_saveexec_b64 s[0:1], s[4:5]
	s_cbranch_execz .LBB24_251
; %bb.250:
	v_bcnt_u32_b32 v0, v0, 0
	v_bcnt_u32_b32 v0, v1, v0
	s_waitcnt lgkmcnt(0)
	v_add_u32_e32 v0, v71, v0
	ds_write_b32 v75, v0 offset:16
.LBB24_251:
	s_or_b64 exec, exec, s[0:1]
	s_waitcnt vmcnt(1)
	v_lshrrev_b32_sdwa v0, s88, v8 dst_sel:DWORD dst_unused:UNUSED_PAD src0_sel:DWORD src1_sel:WORD_0
	v_and_b32_e32 v76, s9, v0
	v_mad_u32_u24 v0, v76, 20, v31
	; wave barrier
	ds_read_b32 v74, v0 offset:16
	v_and_b32_e32 v0, 1, v76
	v_mov_b32_e32 v1, 0
	v_lshl_add_u64 v[4:5], v[0:1], 0, -1
	v_cmp_ne_u32_e32 vcc, 0, v0
	v_mul_u32_u24_e32 v77, 20, v76
	s_nop 0
	v_xor_b32_e32 v4, vcc_lo, v4
	v_xor_b32_e32 v0, vcc_hi, v5
	v_and_b32_e32 v78, exec_lo, v4
	v_lshlrev_b32_e32 v5, 30, v76
	v_mov_b32_e32 v4, v1
	v_cmp_gt_i64_e32 vcc, 0, v[4:5]
	v_not_b32_e32 v4, v5
	v_ashrrev_i32_e32 v4, 31, v4
	v_and_b32_e32 v0, exec_hi, v0
	v_xor_b32_e32 v5, vcc_hi, v4
	v_xor_b32_e32 v4, vcc_lo, v4
	v_and_b32_e32 v0, v0, v5
	v_and_b32_e32 v78, v78, v4
	v_lshlrev_b32_e32 v5, 29, v76
	v_mov_b32_e32 v4, v1
	v_cmp_gt_i64_e32 vcc, 0, v[4:5]
	v_not_b32_e32 v4, v5
	v_ashrrev_i32_e32 v4, 31, v4
	v_xor_b32_e32 v5, vcc_hi, v4
	v_xor_b32_e32 v4, vcc_lo, v4
	v_and_b32_e32 v0, v0, v5
	v_and_b32_e32 v78, v78, v4
	v_lshlrev_b32_e32 v5, 28, v76
	v_mov_b32_e32 v4, v1
	v_cmp_gt_i64_e32 vcc, 0, v[4:5]
	v_not_b32_e32 v4, v5
	v_ashrrev_i32_e32 v4, 31, v4
	;; [unrolled: 9-line block ×6, first 2 shown]
	v_xor_b32_e32 v5, vcc_hi, v4
	v_xor_b32_e32 v4, vcc_lo, v4
	v_and_b32_e32 v4, v78, v4
	v_and_b32_e32 v5, v0, v5
	v_mbcnt_lo_u32_b32 v0, v4, 0
	v_mbcnt_hi_u32_b32 v76, v5, v0
	v_cmp_eq_u32_e32 vcc, 0, v76
	v_cmp_ne_u64_e64 s[0:1], 0, v[4:5]
	s_and_b64 s[4:5], s[0:1], vcc
	v_add_u32_e32 v78, v31, v77
	; wave barrier
	s_and_saveexec_b64 s[0:1], s[4:5]
	s_cbranch_execz .LBB24_253
; %bb.252:
	v_bcnt_u32_b32 v0, v4, 0
	v_bcnt_u32_b32 v0, v5, v0
	s_waitcnt lgkmcnt(0)
	v_add_u32_e32 v0, v74, v0
	ds_write_b32 v78, v0 offset:16
.LBB24_253:
	s_or_b64 exec, exec, s[0:1]
	s_waitcnt vmcnt(0)
	v_lshrrev_b32_sdwa v0, s88, v7 dst_sel:DWORD dst_unused:UNUSED_PAD src0_sel:DWORD src1_sel:WORD_0
	v_and_b32_e32 v79, s9, v0
	v_mad_u32_u24 v0, v79, 20, v31
	; wave barrier
	ds_read_b32 v77, v0 offset:16
	v_and_b32_e32 v0, 1, v79
	v_lshl_add_u64 v[4:5], v[0:1], 0, -1
	v_cmp_ne_u32_e32 vcc, 0, v0
	v_mul_u32_u24_e32 v80, 20, v79
	v_add_u32_e32 v31, v31, v80
	v_xor_b32_e32 v4, vcc_lo, v4
	v_xor_b32_e32 v0, vcc_hi, v5
	v_and_b32_e32 v81, exec_lo, v4
	v_lshlrev_b32_e32 v5, 30, v79
	v_mov_b32_e32 v4, v1
	v_cmp_gt_i64_e32 vcc, 0, v[4:5]
	v_not_b32_e32 v4, v5
	v_ashrrev_i32_e32 v4, 31, v4
	v_and_b32_e32 v0, exec_hi, v0
	v_xor_b32_e32 v5, vcc_hi, v4
	v_xor_b32_e32 v4, vcc_lo, v4
	v_and_b32_e32 v0, v0, v5
	v_and_b32_e32 v81, v81, v4
	v_lshlrev_b32_e32 v5, 29, v79
	v_mov_b32_e32 v4, v1
	v_cmp_gt_i64_e32 vcc, 0, v[4:5]
	v_not_b32_e32 v4, v5
	v_ashrrev_i32_e32 v4, 31, v4
	v_xor_b32_e32 v5, vcc_hi, v4
	v_xor_b32_e32 v4, vcc_lo, v4
	v_and_b32_e32 v0, v0, v5
	v_and_b32_e32 v81, v81, v4
	v_lshlrev_b32_e32 v5, 28, v79
	v_mov_b32_e32 v4, v1
	v_cmp_gt_i64_e32 vcc, 0, v[4:5]
	v_not_b32_e32 v4, v5
	v_ashrrev_i32_e32 v4, 31, v4
	;; [unrolled: 9-line block ×5, first 2 shown]
	v_xor_b32_e32 v5, vcc_hi, v4
	v_xor_b32_e32 v4, vcc_lo, v4
	v_and_b32_e32 v0, v0, v5
	v_lshlrev_b32_e32 v5, 24, v79
	v_and_b32_e32 v81, v81, v4
	v_mov_b32_e32 v4, v1
	v_not_b32_e32 v1, v5
	v_cmp_gt_i64_e32 vcc, 0, v[4:5]
	v_ashrrev_i32_e32 v1, 31, v1
	s_nop 0
	v_xor_b32_e32 v4, vcc_hi, v1
	v_xor_b32_e32 v5, vcc_lo, v1
	v_and_b32_e32 v1, v0, v4
	v_and_b32_e32 v0, v81, v5
	v_mbcnt_lo_u32_b32 v4, v0, 0
	v_mbcnt_hi_u32_b32 v79, v1, v4
	v_cmp_eq_u32_e32 vcc, 0, v79
	v_cmp_ne_u64_e64 s[0:1], 0, v[0:1]
	s_and_b64 s[4:5], s[0:1], vcc
	; wave barrier
	s_and_saveexec_b64 s[0:1], s[4:5]
	s_cbranch_execz .LBB24_255
; %bb.254:
	v_bcnt_u32_b32 v0, v0, 0
	v_bcnt_u32_b32 v0, v1, v0
	s_waitcnt lgkmcnt(0)
	v_add_u32_e32 v0, v77, v0
	ds_write_b32 v31, v0 offset:16
.LBB24_255:
	s_or_b64 exec, exec, s[0:1]
	; wave barrier
	s_waitcnt lgkmcnt(0)
	s_barrier
	ds_read2_b32 v[4:5], v18 offset0:4 offset1:5
	ds_read2_b32 v[0:1], v18 offset0:6 offset1:7
	ds_read_b32 v80, v18 offset:32
	v_min_u32_e32 v26, 0xc0, v26
	v_or_b32_e32 v26, 63, v26
	s_waitcnt lgkmcnt(1)
	v_add3_u32 v81, v5, v4, v0
	s_waitcnt lgkmcnt(0)
	v_add3_u32 v80, v81, v1, v80
	v_and_b32_e32 v81, 15, v12
	v_cmp_ne_u32_e32 vcc, 0, v81
	v_mov_b32_dpp v82, v80 row_shr:1 row_mask:0xf bank_mask:0xf
	s_nop 0
	v_cndmask_b32_e32 v82, 0, v82, vcc
	v_add_u32_e32 v80, v82, v80
	v_cmp_lt_u32_e32 vcc, 1, v81
	s_nop 0
	v_mov_b32_dpp v82, v80 row_shr:2 row_mask:0xf bank_mask:0xf
	v_cndmask_b32_e32 v82, 0, v82, vcc
	v_add_u32_e32 v80, v80, v82
	v_cmp_lt_u32_e32 vcc, 3, v81
	s_nop 0
	v_mov_b32_dpp v82, v80 row_shr:4 row_mask:0xf bank_mask:0xf
	;; [unrolled: 5-line block ×3, first 2 shown]
	v_cndmask_b32_e32 v81, 0, v82, vcc
	v_add_u32_e32 v80, v80, v81
	v_bfe_i32 v82, v12, 4, 1
	v_cmp_lt_u32_e32 vcc, 31, v12
	v_mov_b32_dpp v81, v80 row_bcast:15 row_mask:0xf bank_mask:0xf
	v_and_b32_e32 v81, v82, v81
	v_add_u32_e32 v80, v80, v81
	s_nop 1
	v_mov_b32_dpp v81, v80 row_bcast:31 row_mask:0xf bank_mask:0xf
	v_cndmask_b32_e32 v81, 0, v81, vcc
	v_add_u32_e32 v80, v80, v81
	v_lshrrev_b32_e32 v81, 6, v2
	v_cmp_eq_u32_e32 vcc, v2, v26
	s_and_saveexec_b64 s[0:1], vcc
; %bb.256:
	v_lshlrev_b32_e32 v26, 2, v81
	ds_write_b32 v26, v80
; %bb.257:
	s_or_b64 exec, exec, s[0:1]
	v_cmp_gt_u32_e32 vcc, 4, v2
	s_waitcnt lgkmcnt(0)
	s_barrier
	s_and_saveexec_b64 s[0:1], vcc
	s_cbranch_execz .LBB24_259
; %bb.258:
	v_lshlrev_b32_e32 v26, 2, v2
	ds_read_b32 v82, v26
	v_and_b32_e32 v83, 3, v12
	v_cmp_ne_u32_e32 vcc, 0, v83
	s_waitcnt lgkmcnt(0)
	v_mov_b32_dpp v84, v82 row_shr:1 row_mask:0xf bank_mask:0xf
	v_cndmask_b32_e32 v84, 0, v84, vcc
	v_add_u32_e32 v82, v84, v82
	v_cmp_lt_u32_e32 vcc, 1, v83
	s_nop 0
	v_mov_b32_dpp v84, v82 row_shr:2 row_mask:0xf bank_mask:0xf
	v_cndmask_b32_e32 v83, 0, v84, vcc
	v_add_u32_e32 v82, v82, v83
	ds_write_b32 v26, v82
.LBB24_259:
	s_or_b64 exec, exec, s[0:1]
	v_cmp_lt_u32_e32 vcc, 63, v2
	v_mov_b32_e32 v26, 0
	s_waitcnt lgkmcnt(0)
	s_barrier
	s_and_saveexec_b64 s[0:1], vcc
; %bb.260:
	v_lshl_add_u32 v26, v81, 2, -4
	ds_read_b32 v26, v26
; %bb.261:
	s_or_b64 exec, exec, s[0:1]
	v_add_u32_e32 v81, -1, v12
	v_and_b32_e32 v82, 64, v12
	v_cmp_lt_i32_e32 vcc, v81, v82
	s_waitcnt lgkmcnt(0)
	v_add_u32_e32 v80, v26, v80
	s_movk_i32 s0, 0x100
	v_cndmask_b32_e32 v81, v81, v12, vcc
	v_lshlrev_b32_e32 v81, 2, v81
	ds_bpermute_b32 v80, v81, v80
	v_cmp_eq_u32_e32 vcc, 0, v12
	s_waitcnt lgkmcnt(0)
	s_nop 0
	v_cndmask_b32_e32 v26, v80, v26, vcc
	v_cmp_ne_u32_e32 vcc, 0, v2
	s_nop 1
	v_cndmask_b32_e32 v26, 0, v26, vcc
	v_add_u32_e32 v4, v26, v4
	v_add_u32_e32 v5, v4, v5
	v_add_u32_e32 v0, v5, v0
	v_add_u32_e32 v1, v0, v1
	ds_write2_b32 v18, v26, v4 offset0:4 offset1:5
	ds_write2_b32 v18, v5, v0 offset0:6 offset1:7
	ds_write_b32 v18, v1 offset:32
	s_waitcnt lgkmcnt(0)
	s_barrier
	ds_read_b32 v4, v29 offset:16
	ds_read_b32 v5, v33 offset:16
	;; [unrolled: 1-line block ×19, first 2 shown]
	v_add_u32_e32 v18, 1, v2
	v_cmp_ne_u32_e32 vcc, s0, v18
	v_mov_b32_e32 v1, 0x1200
	s_and_saveexec_b64 s[0:1], vcc
; %bb.262:
	v_mul_u32_u24_e32 v1, 20, v18
	ds_read_b32 v1, v1 offset:16
; %bb.263:
	s_or_b64 exec, exec, s[0:1]
	s_waitcnt lgkmcnt(14)
	v_add_u32_e32 v48, v4, v27
	v_add3_u32 v45, v30, v28, v5
	v_lshlrev_b32_e32 v4, 1, v48
	v_add3_u32 v42, v34, v32, v26
	s_waitcnt lgkmcnt(0)
	s_barrier
	ds_write_b16 v4, v6 offset:2048
	v_lshlrev_b32_e32 v4, 1, v45
	v_add3_u32 v39, v37, v35, v29
	ds_write_b16 v4, v25 offset:2048
	v_lshlrev_b32_e32 v4, 1, v42
	v_add3_u32 v37, v40, v38, v33
	;; [unrolled: 3-line block ×15, first 2 shown]
	ds_write_b16 v4, v9 offset:2048
	v_lshlrev_b32_e32 v4, 1, v18
	ds_write_b16 v4, v8 offset:2048
	v_lshlrev_b32_e32 v4, 1, v5
	ds_write_b16 v4, v7 offset:2048
	v_sub_u32_e32 v4, v1, v0
	v_lshl_add_u32 v6, s2, 8, v2
	v_mov_b32_e32 v7, 0
	v_lshl_add_u64 v[8:9], v[6:7], 2, s[94:95]
	v_or_b32_e32 v1, 2.0, v4
	s_mov_b64 s[0:1], 0
	s_brev_b32 s10, -4
	v_mov_b32_e32 v13, 0
	s_waitcnt lgkmcnt(0)
	s_barrier
	global_store_dword v[8:9], v1, off sc1
                                        ; implicit-def: $sgpr4_sgpr5
	s_branch .LBB24_266
.LBB24_264:                             ;   in Loop: Header=BB24_266 Depth=1
	s_or_b64 exec, exec, s[6:7]
.LBB24_265:                             ;   in Loop: Header=BB24_266 Depth=1
	s_or_b64 exec, exec, s[4:5]
	v_and_b32_e32 v6, 0x3fffffff, v1
	v_add_u32_e32 v13, v6, v13
	v_cmp_gt_i32_e64 s[4:5], -2.0, v1
	s_and_b64 s[6:7], exec, s[4:5]
	s_or_b64 s[0:1], s[6:7], s[0:1]
	s_andn2_b64 exec, exec, s[0:1]
	s_cbranch_execz .LBB24_271
.LBB24_266:                             ; =>This Loop Header: Depth=1
                                        ;     Child Loop BB24_269 Depth 2
	s_or_b64 s[4:5], s[4:5], exec
	s_cmp_eq_u32 s3, 0
	s_cbranch_scc1 .LBB24_270
; %bb.267:                              ;   in Loop: Header=BB24_266 Depth=1
	s_add_i32 s3, s3, -1
	v_lshl_add_u32 v6, s3, 8, v2
	v_lshl_add_u64 v[10:11], v[6:7], 2, s[94:95]
	global_load_dword v1, v[10:11], off sc1
	s_waitcnt vmcnt(0)
	v_cmp_gt_u32_e32 vcc, 2.0, v1
	s_and_saveexec_b64 s[4:5], vcc
	s_cbranch_execz .LBB24_265
; %bb.268:                              ;   in Loop: Header=BB24_266 Depth=1
	s_mov_b64 s[6:7], 0
.LBB24_269:                             ;   Parent Loop BB24_266 Depth=1
                                        ; =>  This Inner Loop Header: Depth=2
	global_load_dword v1, v[10:11], off sc1
	s_waitcnt vmcnt(0)
	v_cmp_lt_u32_e32 vcc, s10, v1
	s_or_b64 s[6:7], vcc, s[6:7]
	s_andn2_b64 exec, exec, s[6:7]
	s_cbranch_execnz .LBB24_269
	s_branch .LBB24_264
.LBB24_270:                             ;   in Loop: Header=BB24_266 Depth=1
                                        ; implicit-def: $sgpr3
	s_and_b64 s[6:7], exec, s[4:5]
	s_or_b64 s[0:1], s[6:7], s[0:1]
	s_andn2_b64 exec, exec, s[0:1]
	s_cbranch_execnz .LBB24_266
.LBB24_271:
	s_or_b64 exec, exec, s[0:1]
	v_add_u32_e32 v1, v13, v4
	v_or_b32_e32 v1, 0x80000000, v1
	v_lshlrev_b32_e32 v6, 3, v2
	global_store_dword v[8:9], v1, off sc1
	global_load_dwordx2 v[8:9], v6, s[84:85]
	v_sub_co_u32_e32 v10, vcc, v13, v0
	v_mad_i32_i24 v13, v2, -6, v6
	s_nop 0
	v_subb_co_u32_e64 v11, s[0:1], 0, 0, vcc
	v_mov_b32_e32 v1, 0
	v_lshlrev_b32_e32 v14, 1, v2
	v_mov_b32_e32 v15, v1
	v_add_u32_e32 v93, 0xb00, v2
	s_lshl_b64 s[0:1], s[92:93], 3
	s_add_u32 s0, s80, s0
	s_addc_u32 s1, s81, s1
	v_lshlrev_b32_e32 v12, 3, v12
	s_movk_i32 s3, 0x1000
	v_or_b32_e32 v94, 0xc00, v2
	v_add_u32_e32 v95, 0xd00, v2
	v_lshlrev_b32_e32 v66, 1, v95
	v_mov_b32_e32 v67, v1
	v_add_u32_e32 v96, 0xe00, v2
	v_lshlrev_b32_e32 v74, 1, v96
	v_mov_b32_e32 v75, v1
	v_mov_b32_e32 v7, v1
	s_add_i32 s8, s8, -1
	s_cmp_lg_u32 s2, s8
	s_waitcnt vmcnt(0)
	v_lshl_add_u64 v[8:9], v[10:11], 0, v[8:9]
	ds_write_b64 v6, v[8:9]
	s_waitcnt lgkmcnt(0)
	s_barrier
	ds_read_u16 v19, v13 offset:2048
	ds_read_u16 v38, v13 offset:2560
	;; [unrolled: 1-line block ×16, first 2 shown]
	s_waitcnt lgkmcnt(14)
	v_lshrrev_b32_sdwa v8, s88, v19 dst_sel:DWORD dst_unused:UNUSED_PAD src0_sel:DWORD src1_sel:WORD_0
	v_lshrrev_b32_sdwa v9, s88, v38 dst_sel:DWORD dst_unused:UNUSED_PAD src0_sel:DWORD src1_sel:WORD_0
	s_waitcnt lgkmcnt(13)
	v_lshrrev_b32_sdwa v10, s88, v43 dst_sel:DWORD dst_unused:UNUSED_PAD src0_sel:DWORD src1_sel:WORD_0
	s_waitcnt lgkmcnt(12)
	;; [unrolled: 2-line block ×8, first 2 shown]
	v_lshrrev_b32_sdwa v23, s88, v58 dst_sel:DWORD dst_unused:UNUSED_PAD src0_sel:DWORD src1_sel:WORD_0
	v_and_b32_e32 v8, s9, v8
	v_and_b32_e32 v9, s9, v9
	;; [unrolled: 1-line block ×10, first 2 shown]
	v_lshlrev_b32_e32 v78, 3, v8
	v_lshlrev_b32_e32 v79, 3, v9
	;; [unrolled: 1-line block ×10, first 2 shown]
	ds_read_b64 v[8:9], v78
	ds_read_b64 v[10:11], v79
	;; [unrolled: 1-line block ×10, first 2 shown]
	ds_read_u16 v88, v13 offset:10240
	ds_read_u16 v89, v13 offset:10752
	s_waitcnt lgkmcnt(11)
	v_lshl_add_u64 v[8:9], v[8:9], 1, s[78:79]
	s_waitcnt lgkmcnt(10)
	v_lshl_add_u64 v[10:11], v[10:11], 1, s[78:79]
	;; [unrolled: 2-line block ×8, first 2 shown]
	v_lshl_add_u64 v[8:9], v[8:9], 0, v[14:15]
	v_lshl_add_u64 v[10:11], v[10:11], 0, v[14:15]
	;; [unrolled: 1-line block ×8, first 2 shown]
	global_store_short v[8:9], v19, off
	global_store_short v[10:11], v38, off offset:512
	global_store_short v[16:17], v43, off offset:1024
	;; [unrolled: 1-line block ×7, first 2 shown]
	v_or_b32_e32 v38, 0x800, v2
	s_waitcnt lgkmcnt(3)
	v_lshl_add_u64 v[8:9], v[50:51], 1, s[78:79]
	v_lshlrev_b32_e32 v10, 1, v38
	v_mov_b32_e32 v11, v1
	v_lshl_add_u64 v[8:9], v[8:9], 0, v[10:11]
	v_add_u32_e32 v43, 0x900, v2
	global_store_short v[8:9], v57, off
	s_waitcnt lgkmcnt(2)
	v_lshl_add_u64 v[8:9], v[52:53], 1, s[78:79]
	v_lshlrev_b32_e32 v10, 1, v43
	v_lshl_add_u64 v[8:9], v[8:9], 0, v[10:11]
	global_store_short v[8:9], v58, off
	v_lshrrev_b32_sdwa v8, s88, v59 dst_sel:DWORD dst_unused:UNUSED_PAD src0_sel:DWORD src1_sel:WORD_0
	v_and_b32_e32 v8, s9, v8
	v_lshrrev_b32_sdwa v10, s88, v60 dst_sel:DWORD dst_unused:UNUSED_PAD src0_sel:DWORD src1_sel:WORD_0
	v_lshlrev_b32_e32 v49, 3, v8
	v_and_b32_e32 v10, s9, v10
	ds_read_b64 v[8:9], v49
	v_lshlrev_b32_e32 v90, 3, v10
	v_lshrrev_b32_sdwa v10, s88, v62 dst_sel:DWORD dst_unused:UNUSED_PAD src0_sel:DWORD src1_sel:WORD_0
	v_and_b32_e32 v10, s9, v10
	v_lshlrev_b32_e32 v91, 3, v10
	v_lshrrev_b32_sdwa v10, s88, v70 dst_sel:DWORD dst_unused:UNUSED_PAD src0_sel:DWORD src1_sel:WORD_0
	v_and_b32_e32 v10, s9, v10
	v_add_u32_e32 v44, 0xa00, v2
	v_lshlrev_b32_e32 v92, 3, v10
	ds_read_b64 v[10:11], v90
	ds_read_b64 v[14:15], v91
	;; [unrolled: 1-line block ×3, first 2 shown]
	s_waitcnt lgkmcnt(3)
	v_lshl_add_u64 v[8:9], v[8:9], 1, s[78:79]
	v_lshlrev_b32_e32 v20, 1, v44
	v_mov_b32_e32 v21, v1
	v_lshl_add_u64 v[8:9], v[8:9], 0, v[20:21]
	global_store_short v[8:9], v59, off
	s_waitcnt lgkmcnt(2)
	v_lshl_add_u64 v[8:9], v[10:11], 1, s[78:79]
	v_lshlrev_b32_e32 v10, 1, v93
	v_mov_b32_e32 v11, v1
	v_lshl_add_u64 v[8:9], v[8:9], 0, v[10:11]
	v_mov_b32_e32 v13, v1
	global_store_short v[8:9], v60, off
	s_waitcnt lgkmcnt(1)
	v_lshl_add_u64 v[8:9], v[14:15], 1, s[78:79]
	v_lshl_add_u64 v[12:13], s[0:1], 0, v[12:13]
	v_lshlrev_b32_e32 v14, 3, v3
	v_mov_b32_e32 v15, v1
	v_lshl_add_u64 v[12:13], v[12:13], 0, v[14:15]
	s_movk_i32 s0, 0x2000
	v_add_co_u32_e32 v54, vcc, s0, v12
	global_load_dwordx2 v[14:15], v[12:13], off
	global_load_dwordx2 v[20:21], v[12:13], off offset:512
	global_load_dwordx2 v[22:23], v[12:13], off offset:1024
	;; [unrolled: 1-line block ×7, first 2 shown]
	v_addc_co_u32_e32 v55, vcc, 0, v13, vcc
	global_load_dwordx2 v[56:57], v[54:55], off offset:-4096
	v_add_co_u32_e32 v12, vcc, s3, v12
	v_lshlrev_b32_e32 v10, 1, v94
	s_nop 0
	v_addc_co_u32_e32 v13, vcc, 0, v13, vcc
	global_load_dwordx2 v[58:59], v[12:13], off offset:512
	global_load_dwordx2 v[60:61], v[12:13], off offset:1024
	v_lshl_add_u64 v[8:9], v[8:9], 0, v[10:11]
	global_load_dwordx2 v[10:11], v[12:13], off offset:1536
	global_load_dwordx2 v[64:65], v[12:13], off offset:3072
	global_load_dwordx2 v[68:69], v[54:55], off
	v_lshrrev_b32_sdwa v3, s88, v76 dst_sel:DWORD dst_unused:UNUSED_PAD src0_sel:DWORD src1_sel:WORD_0
	global_store_short v[8:9], v62, off
	global_load_dwordx2 v[8:9], v[12:13], off offset:2048
	v_and_b32_e32 v3, s9, v3
	global_load_dwordx2 v[62:63], v[12:13], off offset:2560
	s_waitcnt lgkmcnt(0)
	v_lshl_add_u64 v[16:17], v[16:17], 1, s[78:79]
	global_load_dwordx2 v[12:13], v[12:13], off offset:3584
	v_lshlrev_b32_e32 v97, 3, v3
	global_load_dwordx2 v[54:55], v[54:55], off offset:512
	v_lshrrev_b32_sdwa v3, s88, v77 dst_sel:DWORD dst_unused:UNUSED_PAD src0_sel:DWORD src1_sel:WORD_0
	v_lshl_add_u64 v[16:17], v[16:17], 0, v[66:67]
	v_and_b32_e32 v3, s9, v3
	global_store_short v[16:17], v70, off
	ds_read_b64 v[16:17], v97
	v_lshlrev_b32_e32 v98, 3, v3
	v_lshrrev_b32_sdwa v3, s88, v88 dst_sel:DWORD dst_unused:UNUSED_PAD src0_sel:DWORD src1_sel:WORD_0
	v_and_b32_e32 v3, s9, v3
	v_lshlrev_b32_e32 v99, 3, v3
	v_lshrrev_b32_sdwa v3, s88, v89 dst_sel:DWORD dst_unused:UNUSED_PAD src0_sel:DWORD src1_sel:WORD_0
	v_and_b32_e32 v3, s9, v3
	v_lshlrev_b32_e32 v100, 3, v3
	ds_read_b64 v[66:67], v98
	ds_read_b64 v[70:71], v99
	;; [unrolled: 1-line block ×3, first 2 shown]
	s_waitcnt lgkmcnt(3)
	v_lshl_add_u64 v[16:17], v[16:17], 1, s[78:79]
	v_lshl_add_u64 v[16:17], v[16:17], 0, v[74:75]
	v_add_u32_e32 v74, 0xf00, v2
	global_store_short v[16:17], v76, off
	s_waitcnt lgkmcnt(2)
	v_lshl_add_u64 v[16:17], v[66:67], 1, s[78:79]
	v_lshlrev_b32_e32 v66, 1, v74
	v_mov_b32_e32 v67, v1
	v_lshl_add_u64 v[16:17], v[16:17], 0, v[66:67]
	v_or_b32_e32 v75, 0x1000, v2
	global_store_short v[16:17], v77, off
	s_waitcnt lgkmcnt(1)
	v_lshl_add_u64 v[16:17], v[70:71], 1, s[78:79]
	v_lshlrev_b32_e32 v66, 1, v75
	v_lshl_add_u64 v[16:17], v[16:17], 0, v[66:67]
	v_add_u32_e32 v66, 0x1100, v2
	global_store_short v[16:17], v88, off
	s_waitcnt lgkmcnt(0)
	v_lshl_add_u64 v[2:3], v[72:73], 1, s[78:79]
	v_lshlrev_b32_e32 v16, 1, v66
	v_mov_b32_e32 v17, v1
	v_lshl_add_u64 v[2:3], v[2:3], 0, v[16:17]
	global_store_short v[2:3], v89, off
	v_lshlrev_b32_e32 v2, 3, v48
	s_barrier
	v_mov_b32_e32 v19, v1
	s_waitcnt vmcnt(23)
	ds_write_b64 v2, v[14:15] offset:2048
	v_lshlrev_b32_e32 v2, 3, v45
	s_waitcnt vmcnt(22)
	ds_write_b64 v2, v[20:21] offset:2048
	v_lshlrev_b32_e32 v2, 3, v42
	;; [unrolled: 3-line block ×14, first 2 shown]
	ds_write_b64 v2, v[64:65] offset:2048
	v_lshlrev_b32_e32 v2, 3, v26
	s_waitcnt vmcnt(6)
	ds_write_b64 v2, v[12:13] offset:2048
	v_lshlrev_b32_e32 v2, 3, v18
	ds_write_b64 v2, v[68:69] offset:2048
	v_lshlrev_b32_e32 v2, 3, v5
	s_waitcnt vmcnt(5)
	ds_write_b64 v2, v[54:55] offset:2048
	s_waitcnt lgkmcnt(0)
	s_barrier
	ds_read_b64 v[2:3], v78
	ds_read2st64_b64 v[8:11], v6 offset0:4 offset1:8
	ds_read_b64 v[12:13], v79
	ds_read_b64 v[14:15], v80
	;; [unrolled: 1-line block ×3, first 2 shown]
	s_waitcnt lgkmcnt(4)
	v_lshl_add_u64 v[2:3], v[2:3], 3, s[82:83]
	v_lshl_add_u64 v[2:3], v[2:3], 0, v[6:7]
	s_waitcnt lgkmcnt(3)
	global_store_dwordx2 v[2:3], v[8:9], off
	s_waitcnt lgkmcnt(2)
	v_lshl_add_u64 v[2:3], v[12:13], 3, s[82:83]
	v_lshl_add_u64 v[2:3], v[2:3], 0, v[6:7]
	global_store_dwordx2 v[2:3], v[10:11], off offset:2048
	ds_read2st64_b64 v[8:11], v6 offset0:12 offset1:16
	s_waitcnt lgkmcnt(2)
	v_lshl_add_u64 v[2:3], v[14:15], 3, s[82:83]
	v_add_u32_e32 v12, 0x1000, v6
	v_mov_b32_e32 v13, v1
	v_lshl_add_u64 v[2:3], v[2:3], 0, v[12:13]
	s_waitcnt lgkmcnt(0)
	global_store_dwordx2 v[2:3], v[8:9], off
	v_lshl_add_u64 v[2:3], v[16:17], 3, s[82:83]
	v_add_u32_e32 v8, 0x1800, v6
	v_mov_b32_e32 v9, v1
	v_lshl_add_u64 v[2:3], v[2:3], 0, v[8:9]
	global_store_dwordx2 v[2:3], v[10:11], off
	ds_read_b64 v[2:3], v82
	ds_read2st64_b64 v[8:11], v6 offset0:20 offset1:24
	ds_read_b64 v[12:13], v83
	ds_read_b64 v[14:15], v84
	;; [unrolled: 1-line block ×3, first 2 shown]
	s_waitcnt lgkmcnt(4)
	v_lshl_add_u64 v[2:3], v[2:3], 3, s[82:83]
	v_or_b32_e32 v18, 0x2000, v6
	v_lshl_add_u64 v[2:3], v[2:3], 0, v[18:19]
	s_waitcnt lgkmcnt(3)
	global_store_dwordx2 v[2:3], v[8:9], off
	s_waitcnt lgkmcnt(2)
	v_lshl_add_u64 v[2:3], v[12:13], 3, s[82:83]
	v_add_u32_e32 v8, 0x2800, v6
	v_mov_b32_e32 v9, v1
	v_lshl_add_u64 v[2:3], v[2:3], 0, v[8:9]
	global_store_dwordx2 v[2:3], v[10:11], off
	ds_read2st64_b64 v[8:11], v6 offset0:28 offset1:32
	s_waitcnt lgkmcnt(2)
	v_lshl_add_u64 v[2:3], v[14:15], 3, s[82:83]
	v_add_u32_e32 v12, 0x3000, v6
	v_mov_b32_e32 v13, v1
	v_lshl_add_u64 v[2:3], v[2:3], 0, v[12:13]
	s_waitcnt lgkmcnt(0)
	global_store_dwordx2 v[2:3], v[8:9], off
	v_lshl_add_u64 v[2:3], v[16:17], 3, s[82:83]
	v_add_u32_e32 v8, 0x3800, v6
	v_mov_b32_e32 v9, v1
	v_lshl_add_u64 v[2:3], v[2:3], 0, v[8:9]
	global_store_dwordx2 v[2:3], v[10:11], off
	ds_read_b64 v[2:3], v86
	ds_read2st64_b64 v[8:11], v6 offset0:36 offset1:40
	ds_read_b64 v[12:13], v87
	ds_read_b64 v[14:15], v49
	;; [unrolled: 1-line block ×3, first 2 shown]
	s_waitcnt lgkmcnt(4)
	v_lshl_add_u64 v[2:3], v[2:3], 3, s[82:83]
	v_lshlrev_b32_e32 v18, 3, v38
	v_lshl_add_u64 v[2:3], v[2:3], 0, v[18:19]
	s_waitcnt lgkmcnt(3)
	global_store_dwordx2 v[2:3], v[8:9], off
	s_waitcnt lgkmcnt(2)
	v_lshl_add_u64 v[2:3], v[12:13], 3, s[82:83]
	v_lshlrev_b32_e32 v8, 3, v43
	v_mov_b32_e32 v9, v1
	v_lshl_add_u64 v[2:3], v[2:3], 0, v[8:9]
	global_store_dwordx2 v[2:3], v[10:11], off
	ds_read2st64_b64 v[8:11], v6 offset0:44 offset1:48
	s_waitcnt lgkmcnt(2)
	v_lshl_add_u64 v[2:3], v[14:15], 3, s[82:83]
	v_lshlrev_b32_e32 v12, 3, v44
	v_mov_b32_e32 v13, v1
	v_lshl_add_u64 v[2:3], v[2:3], 0, v[12:13]
	s_waitcnt lgkmcnt(0)
	global_store_dwordx2 v[2:3], v[8:9], off
	v_lshl_add_u64 v[2:3], v[16:17], 3, s[82:83]
	v_lshlrev_b32_e32 v8, 3, v93
	v_mov_b32_e32 v9, v1
	v_lshl_add_u64 v[2:3], v[2:3], 0, v[8:9]
	global_store_dwordx2 v[2:3], v[10:11], off
	ds_read_b64 v[2:3], v91
	ds_read2st64_b64 v[8:11], v6 offset0:52 offset1:56
	ds_read_b64 v[12:13], v92
	ds_read_b64 v[14:15], v97
	;; [unrolled: 1-line block ×3, first 2 shown]
	s_waitcnt lgkmcnt(4)
	v_lshl_add_u64 v[2:3], v[2:3], 3, s[82:83]
	v_lshlrev_b32_e32 v18, 3, v94
	v_lshl_add_u64 v[2:3], v[2:3], 0, v[18:19]
	s_waitcnt lgkmcnt(3)
	global_store_dwordx2 v[2:3], v[8:9], off
	s_waitcnt lgkmcnt(2)
	v_lshl_add_u64 v[2:3], v[12:13], 3, s[82:83]
	v_lshlrev_b32_e32 v8, 3, v95
	v_mov_b32_e32 v9, v1
	v_lshl_add_u64 v[2:3], v[2:3], 0, v[8:9]
	global_store_dwordx2 v[2:3], v[10:11], off
	ds_read2st64_b64 v[8:11], v6 offset0:60 offset1:64
	s_waitcnt lgkmcnt(2)
	v_lshl_add_u64 v[2:3], v[14:15], 3, s[82:83]
	v_lshlrev_b32_e32 v12, 3, v96
	v_mov_b32_e32 v13, v1
	v_lshl_add_u64 v[2:3], v[2:3], 0, v[12:13]
	s_waitcnt lgkmcnt(0)
	global_store_dwordx2 v[2:3], v[8:9], off
	v_lshl_add_u64 v[2:3], v[16:17], 3, s[82:83]
	v_lshlrev_b32_e32 v8, 3, v74
	v_mov_b32_e32 v9, v1
	ds_read_b64 v[12:13], v99
	v_lshl_add_u64 v[2:3], v[2:3], 0, v[8:9]
	global_store_dwordx2 v[2:3], v[10:11], off
	ds_read2st64_b64 v[8:11], v6 offset0:68 offset1:72
	ds_read_b64 v[2:3], v100
	v_lshlrev_b32_e32 v14, 3, v75
	s_waitcnt lgkmcnt(2)
	v_lshl_add_u64 v[12:13], v[12:13], 3, s[82:83]
	v_mov_b32_e32 v15, v1
	v_lshl_add_u64 v[12:13], v[12:13], 0, v[14:15]
	s_waitcnt lgkmcnt(1)
	global_store_dwordx2 v[12:13], v[8:9], off
	s_waitcnt lgkmcnt(0)
	v_lshl_add_u64 v[2:3], v[2:3], 3, s[82:83]
	v_lshlrev_b32_e32 v8, 3, v66
	v_mov_b32_e32 v9, v1
	v_lshl_add_u64 v[2:3], v[2:3], 0, v[8:9]
	global_store_dwordx2 v[2:3], v[10:11], off
	s_cbranch_scc1 .LBB24_273
; %bb.272:
	ds_read_b64 v[2:3], v6
	v_mov_b32_e32 v5, v1
	v_lshl_add_u64 v[0:1], v[4:5], 0, v[0:1]
	s_waitcnt lgkmcnt(0)
	v_lshl_add_u64 v[0:1], v[0:1], 0, v[2:3]
	global_store_dwordx2 v6, v[0:1], s[86:87]
.LBB24_273:
	s_endpgm
.LBB24_274:
	s_or_b64 exec, exec, s[4:5]
	s_and_saveexec_b64 s[4:5], s[40:41]
	s_cbranch_execz .LBB24_199
.LBB24_275:
	v_lshlrev_b32_e32 v2, 3, v56
	ds_read_b64 v[28:29], v2
	ds_read_b64 v[30:31], v8 offset:4096
	v_mov_b32_e32 v9, 0
	s_waitcnt lgkmcnt(1)
	v_lshl_add_u64 v[28:29], v[28:29], 3, s[82:83]
	v_lshl_add_u64 v[28:29], v[28:29], 0, v[8:9]
	s_waitcnt lgkmcnt(0)
	global_store_dwordx2 v[28:29], v[30:31], off offset:2048
	s_or_b64 exec, exec, s[4:5]
	s_and_saveexec_b64 s[4:5], s[42:43]
	s_cbranch_execnz .LBB24_200
.LBB24_276:
	s_or_b64 exec, exec, s[4:5]
	s_and_saveexec_b64 s[4:5], s[44:45]
	s_cbranch_execz .LBB24_201
.LBB24_277:
	v_lshlrev_b32_e32 v2, 3, v54
	ds_read_b64 v[28:29], v2
	ds_read_b64 v[30:31], v8 offset:8192
	v_lshlrev_b32_e32 v12, 3, v13
	v_mov_b32_e32 v13, 0
	s_waitcnt lgkmcnt(1)
	v_lshl_add_u64 v[28:29], v[28:29], 3, s[82:83]
	v_lshl_add_u64 v[12:13], v[28:29], 0, v[12:13]
	s_waitcnt lgkmcnt(0)
	global_store_dwordx2 v[12:13], v[30:31], off
	s_or_b64 exec, exec, s[4:5]
	s_and_saveexec_b64 s[4:5], s[46:47]
	s_cbranch_execnz .LBB24_202
.LBB24_278:
	s_or_b64 exec, exec, s[4:5]
	s_and_saveexec_b64 s[4:5], s[48:49]
	s_cbranch_execz .LBB24_203
.LBB24_279:
	v_lshlrev_b32_e32 v2, 3, v52
	ds_read_b64 v[12:13], v2
	ds_read_b64 v[28:29], v8 offset:12288
	v_lshlrev_b32_e32 v16, 3, v16
	v_mov_b32_e32 v17, 0
	s_waitcnt lgkmcnt(1)
	v_lshl_add_u64 v[12:13], v[12:13], 3, s[82:83]
	v_lshl_add_u64 v[12:13], v[12:13], 0, v[16:17]
	s_waitcnt lgkmcnt(0)
	global_store_dwordx2 v[12:13], v[28:29], off
	s_or_b64 exec, exec, s[4:5]
	s_and_saveexec_b64 s[4:5], s[50:51]
	s_cbranch_execnz .LBB24_204
.LBB24_280:
	s_or_b64 exec, exec, s[4:5]
	s_and_saveexec_b64 s[4:5], s[52:53]
	s_cbranch_execz .LBB24_205
.LBB24_281:
	v_lshlrev_b32_e32 v2, 3, v50
	ds_read_b64 v[12:13], v2
	ds_read_b64 v[16:17], v8 offset:16384
	v_lshlrev_b32_e32 v18, 3, v19
	v_mov_b32_e32 v19, 0
	s_waitcnt lgkmcnt(1)
	v_lshl_add_u64 v[12:13], v[12:13], 3, s[82:83]
	v_lshl_add_u64 v[12:13], v[12:13], 0, v[18:19]
	s_waitcnt lgkmcnt(0)
	global_store_dwordx2 v[12:13], v[16:17], off
	s_or_b64 exec, exec, s[4:5]
	s_and_saveexec_b64 s[4:5], s[54:55]
	s_cbranch_execnz .LBB24_206
.LBB24_282:
	s_or_b64 exec, exec, s[4:5]
	s_and_saveexec_b64 s[4:5], s[56:57]
	s_cbranch_execz .LBB24_207
.LBB24_283:
	v_lshlrev_b32_e32 v2, 3, v48
	ds_read_b64 v[12:13], v2
	ds_read_b64 v[16:17], v8 offset:20480
	v_lshlrev_b32_e32 v18, 3, v21
	v_mov_b32_e32 v19, 0
	s_waitcnt lgkmcnt(1)
	v_lshl_add_u64 v[12:13], v[12:13], 3, s[82:83]
	v_lshl_add_u64 v[12:13], v[12:13], 0, v[18:19]
	s_waitcnt lgkmcnt(0)
	global_store_dwordx2 v[12:13], v[16:17], off
	s_or_b64 exec, exec, s[4:5]
	s_and_saveexec_b64 s[4:5], s[58:59]
	s_cbranch_execnz .LBB24_208
.LBB24_284:
	s_or_b64 exec, exec, s[4:5]
	s_and_saveexec_b64 s[4:5], s[60:61]
	s_cbranch_execz .LBB24_209
.LBB24_285:
	v_lshlrev_b32_e32 v2, 3, v46
	ds_read_b64 v[12:13], v2
	ds_read_b64 v[16:17], v8 offset:24576
	v_lshlrev_b32_e32 v18, 3, v23
	v_mov_b32_e32 v19, 0
	s_waitcnt lgkmcnt(1)
	v_lshl_add_u64 v[12:13], v[12:13], 3, s[82:83]
	v_lshl_add_u64 v[12:13], v[12:13], 0, v[18:19]
	s_waitcnt lgkmcnt(0)
	global_store_dwordx2 v[12:13], v[16:17], off
	s_or_b64 exec, exec, s[4:5]
	s_and_saveexec_b64 s[4:5], s[62:63]
	s_cbranch_execnz .LBB24_210
.LBB24_286:
	s_or_b64 exec, exec, s[4:5]
	s_and_saveexec_b64 s[4:5], s[64:65]
	s_cbranch_execz .LBB24_211
.LBB24_287:
	v_lshlrev_b32_e32 v2, 3, v11
	ds_read_b64 v[12:13], v2
	ds_read_b64 v[16:17], v8 offset:28672
	v_lshlrev_b32_e32 v18, 3, v25
	v_mov_b32_e32 v19, 0
	s_waitcnt lgkmcnt(1)
	v_lshl_add_u64 v[12:13], v[12:13], 3, s[82:83]
	v_lshl_add_u64 v[12:13], v[12:13], 0, v[18:19]
	s_waitcnt lgkmcnt(0)
	global_store_dwordx2 v[12:13], v[16:17], off
	s_or_b64 exec, exec, s[4:5]
	s_and_saveexec_b64 s[4:5], s[66:67]
	s_cbranch_execnz .LBB24_212
.LBB24_288:
	s_or_b64 exec, exec, s[4:5]
	s_and_saveexec_b64 s[4:5], s[68:69]
	s_cbranch_execz .LBB24_213
.LBB24_289:
	v_lshlrev_b32_e32 v2, 3, v10
	ds_read_b64 v[10:11], v2
	ds_read_b64 v[12:13], v8 offset:32768
	v_lshlrev_b32_e32 v16, 3, v27
	v_mov_b32_e32 v17, 0
	s_waitcnt lgkmcnt(1)
	v_lshl_add_u64 v[10:11], v[10:11], 3, s[82:83]
	v_lshl_add_u64 v[10:11], v[10:11], 0, v[16:17]
	s_waitcnt lgkmcnt(0)
	global_store_dwordx2 v[10:11], v[12:13], off
	s_or_b64 exec, exec, s[4:5]
	s_and_saveexec_b64 s[4:5], s[70:71]
	s_cbranch_execnz .LBB24_214
.LBB24_290:
	s_or_b64 exec, exec, s[4:5]
	s_and_saveexec_b64 s[4:5], s[72:73]
	s_cbranch_execz .LBB24_215
.LBB24_291:
	v_lshlrev_b32_e32 v2, 3, v3
	ds_read_b64 v[2:3], v2
	ds_read_b64 v[10:11], v8 offset:36864
	v_lshlrev_b32_e32 v12, 3, v44
	v_mov_b32_e32 v13, 0
	s_waitcnt lgkmcnt(1)
	v_lshl_add_u64 v[2:3], v[2:3], 3, s[82:83]
	v_lshl_add_u64 v[2:3], v[2:3], 0, v[12:13]
	s_waitcnt lgkmcnt(0)
	global_store_dwordx2 v[2:3], v[10:11], off
	s_or_b64 exec, exec, s[4:5]
	s_add_i32 s33, s33, -1
	s_cmp_eq_u32 s2, s33
	s_cbranch_scc1 .LBB24_216
	s_branch .LBB24_217
	.section	.rodata,"a",@progbits
	.p2align	6, 0x0
	.amdhsa_kernel _ZN7rocprim17ROCPRIM_304000_NS6detail25onesweep_iteration_kernelINS1_34wrapped_radix_sort_onesweep_configINS0_14default_configEtN2at4cuda3cub6detail10OpaqueTypeILi8EEEEELb0EPKtPtPKSA_PSA_mNS0_19identity_decomposerEEEvT1_T2_T3_T4_jPT5_SO_PNS1_23onesweep_lookback_stateET6_jjj
		.amdhsa_group_segment_fixed_size 38912
		.amdhsa_private_segment_fixed_size 0
		.amdhsa_kernarg_size 336
		.amdhsa_user_sgpr_count 2
		.amdhsa_user_sgpr_dispatch_ptr 0
		.amdhsa_user_sgpr_queue_ptr 0
		.amdhsa_user_sgpr_kernarg_segment_ptr 1
		.amdhsa_user_sgpr_dispatch_id 0
		.amdhsa_user_sgpr_kernarg_preload_length 0
		.amdhsa_user_sgpr_kernarg_preload_offset 0
		.amdhsa_user_sgpr_private_segment_size 0
		.amdhsa_uses_dynamic_stack 0
		.amdhsa_enable_private_segment 0
		.amdhsa_system_sgpr_workgroup_id_x 1
		.amdhsa_system_sgpr_workgroup_id_y 0
		.amdhsa_system_sgpr_workgroup_id_z 0
		.amdhsa_system_sgpr_workgroup_info 0
		.amdhsa_system_vgpr_workitem_id 2
		.amdhsa_next_free_vgpr 101
		.amdhsa_next_free_sgpr 97
		.amdhsa_accum_offset 104
		.amdhsa_reserve_vcc 1
		.amdhsa_float_round_mode_32 0
		.amdhsa_float_round_mode_16_64 0
		.amdhsa_float_denorm_mode_32 3
		.amdhsa_float_denorm_mode_16_64 3
		.amdhsa_dx10_clamp 1
		.amdhsa_ieee_mode 1
		.amdhsa_fp16_overflow 0
		.amdhsa_tg_split 0
		.amdhsa_exception_fp_ieee_invalid_op 0
		.amdhsa_exception_fp_denorm_src 0
		.amdhsa_exception_fp_ieee_div_zero 0
		.amdhsa_exception_fp_ieee_overflow 0
		.amdhsa_exception_fp_ieee_underflow 0
		.amdhsa_exception_fp_ieee_inexact 0
		.amdhsa_exception_int_div_zero 0
	.end_amdhsa_kernel
	.section	.text._ZN7rocprim17ROCPRIM_304000_NS6detail25onesweep_iteration_kernelINS1_34wrapped_radix_sort_onesweep_configINS0_14default_configEtN2at4cuda3cub6detail10OpaqueTypeILi8EEEEELb0EPKtPtPKSA_PSA_mNS0_19identity_decomposerEEEvT1_T2_T3_T4_jPT5_SO_PNS1_23onesweep_lookback_stateET6_jjj,"axG",@progbits,_ZN7rocprim17ROCPRIM_304000_NS6detail25onesweep_iteration_kernelINS1_34wrapped_radix_sort_onesweep_configINS0_14default_configEtN2at4cuda3cub6detail10OpaqueTypeILi8EEEEELb0EPKtPtPKSA_PSA_mNS0_19identity_decomposerEEEvT1_T2_T3_T4_jPT5_SO_PNS1_23onesweep_lookback_stateET6_jjj,comdat
.Lfunc_end24:
	.size	_ZN7rocprim17ROCPRIM_304000_NS6detail25onesweep_iteration_kernelINS1_34wrapped_radix_sort_onesweep_configINS0_14default_configEtN2at4cuda3cub6detail10OpaqueTypeILi8EEEEELb0EPKtPtPKSA_PSA_mNS0_19identity_decomposerEEEvT1_T2_T3_T4_jPT5_SO_PNS1_23onesweep_lookback_stateET6_jjj, .Lfunc_end24-_ZN7rocprim17ROCPRIM_304000_NS6detail25onesweep_iteration_kernelINS1_34wrapped_radix_sort_onesweep_configINS0_14default_configEtN2at4cuda3cub6detail10OpaqueTypeILi8EEEEELb0EPKtPtPKSA_PSA_mNS0_19identity_decomposerEEEvT1_T2_T3_T4_jPT5_SO_PNS1_23onesweep_lookback_stateET6_jjj
                                        ; -- End function
	.set _ZN7rocprim17ROCPRIM_304000_NS6detail25onesweep_iteration_kernelINS1_34wrapped_radix_sort_onesweep_configINS0_14default_configEtN2at4cuda3cub6detail10OpaqueTypeILi8EEEEELb0EPKtPtPKSA_PSA_mNS0_19identity_decomposerEEEvT1_T2_T3_T4_jPT5_SO_PNS1_23onesweep_lookback_stateET6_jjj.num_vgpr, 101
	.set _ZN7rocprim17ROCPRIM_304000_NS6detail25onesweep_iteration_kernelINS1_34wrapped_radix_sort_onesweep_configINS0_14default_configEtN2at4cuda3cub6detail10OpaqueTypeILi8EEEEELb0EPKtPtPKSA_PSA_mNS0_19identity_decomposerEEEvT1_T2_T3_T4_jPT5_SO_PNS1_23onesweep_lookback_stateET6_jjj.num_agpr, 0
	.set _ZN7rocprim17ROCPRIM_304000_NS6detail25onesweep_iteration_kernelINS1_34wrapped_radix_sort_onesweep_configINS0_14default_configEtN2at4cuda3cub6detail10OpaqueTypeILi8EEEEELb0EPKtPtPKSA_PSA_mNS0_19identity_decomposerEEEvT1_T2_T3_T4_jPT5_SO_PNS1_23onesweep_lookback_stateET6_jjj.numbered_sgpr, 97
	.set _ZN7rocprim17ROCPRIM_304000_NS6detail25onesweep_iteration_kernelINS1_34wrapped_radix_sort_onesweep_configINS0_14default_configEtN2at4cuda3cub6detail10OpaqueTypeILi8EEEEELb0EPKtPtPKSA_PSA_mNS0_19identity_decomposerEEEvT1_T2_T3_T4_jPT5_SO_PNS1_23onesweep_lookback_stateET6_jjj.num_named_barrier, 0
	.set _ZN7rocprim17ROCPRIM_304000_NS6detail25onesweep_iteration_kernelINS1_34wrapped_radix_sort_onesweep_configINS0_14default_configEtN2at4cuda3cub6detail10OpaqueTypeILi8EEEEELb0EPKtPtPKSA_PSA_mNS0_19identity_decomposerEEEvT1_T2_T3_T4_jPT5_SO_PNS1_23onesweep_lookback_stateET6_jjj.private_seg_size, 0
	.set _ZN7rocprim17ROCPRIM_304000_NS6detail25onesweep_iteration_kernelINS1_34wrapped_radix_sort_onesweep_configINS0_14default_configEtN2at4cuda3cub6detail10OpaqueTypeILi8EEEEELb0EPKtPtPKSA_PSA_mNS0_19identity_decomposerEEEvT1_T2_T3_T4_jPT5_SO_PNS1_23onesweep_lookback_stateET6_jjj.uses_vcc, 1
	.set _ZN7rocprim17ROCPRIM_304000_NS6detail25onesweep_iteration_kernelINS1_34wrapped_radix_sort_onesweep_configINS0_14default_configEtN2at4cuda3cub6detail10OpaqueTypeILi8EEEEELb0EPKtPtPKSA_PSA_mNS0_19identity_decomposerEEEvT1_T2_T3_T4_jPT5_SO_PNS1_23onesweep_lookback_stateET6_jjj.uses_flat_scratch, 0
	.set _ZN7rocprim17ROCPRIM_304000_NS6detail25onesweep_iteration_kernelINS1_34wrapped_radix_sort_onesweep_configINS0_14default_configEtN2at4cuda3cub6detail10OpaqueTypeILi8EEEEELb0EPKtPtPKSA_PSA_mNS0_19identity_decomposerEEEvT1_T2_T3_T4_jPT5_SO_PNS1_23onesweep_lookback_stateET6_jjj.has_dyn_sized_stack, 0
	.set _ZN7rocprim17ROCPRIM_304000_NS6detail25onesweep_iteration_kernelINS1_34wrapped_radix_sort_onesweep_configINS0_14default_configEtN2at4cuda3cub6detail10OpaqueTypeILi8EEEEELb0EPKtPtPKSA_PSA_mNS0_19identity_decomposerEEEvT1_T2_T3_T4_jPT5_SO_PNS1_23onesweep_lookback_stateET6_jjj.has_recursion, 0
	.set _ZN7rocprim17ROCPRIM_304000_NS6detail25onesweep_iteration_kernelINS1_34wrapped_radix_sort_onesweep_configINS0_14default_configEtN2at4cuda3cub6detail10OpaqueTypeILi8EEEEELb0EPKtPtPKSA_PSA_mNS0_19identity_decomposerEEEvT1_T2_T3_T4_jPT5_SO_PNS1_23onesweep_lookback_stateET6_jjj.has_indirect_call, 0
	.section	.AMDGPU.csdata,"",@progbits
; Kernel info:
; codeLenInByte = 27560
; TotalNumSgprs: 103
; NumVgprs: 101
; NumAgprs: 0
; TotalNumVgprs: 101
; ScratchSize: 0
; MemoryBound: 0
; FloatMode: 240
; IeeeMode: 1
; LDSByteSize: 38912 bytes/workgroup (compile time only)
; SGPRBlocks: 12
; VGPRBlocks: 12
; NumSGPRsForWavesPerEU: 103
; NumVGPRsForWavesPerEU: 101
; AccumOffset: 104
; Occupancy: 4
; WaveLimiterHint : 1
; COMPUTE_PGM_RSRC2:SCRATCH_EN: 0
; COMPUTE_PGM_RSRC2:USER_SGPR: 2
; COMPUTE_PGM_RSRC2:TRAP_HANDLER: 0
; COMPUTE_PGM_RSRC2:TGID_X_EN: 1
; COMPUTE_PGM_RSRC2:TGID_Y_EN: 0
; COMPUTE_PGM_RSRC2:TGID_Z_EN: 0
; COMPUTE_PGM_RSRC2:TIDIG_COMP_CNT: 2
; COMPUTE_PGM_RSRC3_GFX90A:ACCUM_OFFSET: 25
; COMPUTE_PGM_RSRC3_GFX90A:TG_SPLIT: 0
	.section	.text._ZN7rocprim17ROCPRIM_304000_NS6detail25onesweep_iteration_kernelINS1_34wrapped_radix_sort_onesweep_configINS0_14default_configEtN2at4cuda3cub6detail10OpaqueTypeILi8EEEEELb0EPtSC_PSA_SD_mNS0_19identity_decomposerEEEvT1_T2_T3_T4_jPT5_SK_PNS1_23onesweep_lookback_stateET6_jjj,"axG",@progbits,_ZN7rocprim17ROCPRIM_304000_NS6detail25onesweep_iteration_kernelINS1_34wrapped_radix_sort_onesweep_configINS0_14default_configEtN2at4cuda3cub6detail10OpaqueTypeILi8EEEEELb0EPtSC_PSA_SD_mNS0_19identity_decomposerEEEvT1_T2_T3_T4_jPT5_SK_PNS1_23onesweep_lookback_stateET6_jjj,comdat
	.protected	_ZN7rocprim17ROCPRIM_304000_NS6detail25onesweep_iteration_kernelINS1_34wrapped_radix_sort_onesweep_configINS0_14default_configEtN2at4cuda3cub6detail10OpaqueTypeILi8EEEEELb0EPtSC_PSA_SD_mNS0_19identity_decomposerEEEvT1_T2_T3_T4_jPT5_SK_PNS1_23onesweep_lookback_stateET6_jjj ; -- Begin function _ZN7rocprim17ROCPRIM_304000_NS6detail25onesweep_iteration_kernelINS1_34wrapped_radix_sort_onesweep_configINS0_14default_configEtN2at4cuda3cub6detail10OpaqueTypeILi8EEEEELb0EPtSC_PSA_SD_mNS0_19identity_decomposerEEEvT1_T2_T3_T4_jPT5_SK_PNS1_23onesweep_lookback_stateET6_jjj
	.globl	_ZN7rocprim17ROCPRIM_304000_NS6detail25onesweep_iteration_kernelINS1_34wrapped_radix_sort_onesweep_configINS0_14default_configEtN2at4cuda3cub6detail10OpaqueTypeILi8EEEEELb0EPtSC_PSA_SD_mNS0_19identity_decomposerEEEvT1_T2_T3_T4_jPT5_SK_PNS1_23onesweep_lookback_stateET6_jjj
	.p2align	8
	.type	_ZN7rocprim17ROCPRIM_304000_NS6detail25onesweep_iteration_kernelINS1_34wrapped_radix_sort_onesweep_configINS0_14default_configEtN2at4cuda3cub6detail10OpaqueTypeILi8EEEEELb0EPtSC_PSA_SD_mNS0_19identity_decomposerEEEvT1_T2_T3_T4_jPT5_SK_PNS1_23onesweep_lookback_stateET6_jjj,@function
_ZN7rocprim17ROCPRIM_304000_NS6detail25onesweep_iteration_kernelINS1_34wrapped_radix_sort_onesweep_configINS0_14default_configEtN2at4cuda3cub6detail10OpaqueTypeILi8EEEEELb0EPtSC_PSA_SD_mNS0_19identity_decomposerEEEvT1_T2_T3_T4_jPT5_SK_PNS1_23onesweep_lookback_stateET6_jjj: ; @_ZN7rocprim17ROCPRIM_304000_NS6detail25onesweep_iteration_kernelINS1_34wrapped_radix_sort_onesweep_configINS0_14default_configEtN2at4cuda3cub6detail10OpaqueTypeILi8EEEEELb0EPtSC_PSA_SD_mNS0_19identity_decomposerEEEvT1_T2_T3_T4_jPT5_SK_PNS1_23onesweep_lookback_stateET6_jjj
; %bb.0:
	s_load_dwordx8 s[76:83], s[0:1], 0x0
	s_load_dwordx4 s[88:91], s[0:1], 0x44
	s_load_dwordx4 s[84:87], s[0:1], 0x28
	s_load_dwordx2 s[94:95], s[0:1], 0x38
	s_mov_b32 s3, s2
	s_mov_b64 s[4:5], -1
	s_waitcnt lgkmcnt(0)
	s_cmp_ge_u32 s2, s90
	s_mul_i32 s92, s2, 0x1200
	v_mbcnt_lo_u32_b32 v1, -1, 0
	s_cbranch_scc0 .LBB25_218
; %bb.1:
	s_load_dword s6, s[0:1], 0x20
	s_mulk_i32 s90, 0xee00
	s_mov_b32 s93, 0
	s_lshl_b64 s[4:5], s[92:93], 1
	v_mbcnt_hi_u32_b32 v3, -1, v1
	s_waitcnt lgkmcnt(0)
	s_add_i32 s90, s90, s6
	s_add_u32 s4, s76, s4
	v_and_b32_e32 v17, 0xc0, v0
	s_addc_u32 s5, s77, s5
	v_mul_u32_u24_e32 v14, 18, v17
	v_mov_b32_e32 v5, 0
	v_lshlrev_b32_e32 v4, 1, v3
	v_lshl_add_u64 v[6:7], s[4:5], 0, v[4:5]
	v_lshlrev_b32_e32 v4, 1, v14
	v_lshl_add_u64 v[4:5], v[6:7], 0, v[4:5]
	v_or_b32_e32 v7, v3, v14
	v_cmp_gt_u32_e32 vcc, s90, v7
	v_mov_b32_e32 v30, 0xffff
	v_mov_b32_e32 v8, -1
	v_mov_b32_e32 v9, -1
	v_mov_b32_e32 v6, 0xffff
	s_and_saveexec_b64 s[4:5], vcc
	s_cbranch_execz .LBB25_3
; %bb.2:
	global_load_ushort v9, v[4:5], off
	s_waitcnt vmcnt(0)
	v_and_b32_e32 v6, 0xffff, v9
.LBB25_3:
	s_or_b64 exec, exec, s[4:5]
	v_add_u32_e32 v2, 64, v7
	v_cmp_gt_u32_e64 s[74:75], s90, v2
	s_and_saveexec_b64 s[4:5], s[74:75]
	s_cbranch_execz .LBB25_5
; %bb.4:
	global_load_ushort v8, v[4:5], off offset:128
	s_waitcnt vmcnt(0)
	v_and_b32_e32 v30, 0xffff, v8
.LBB25_5:
	s_or_b64 exec, exec, s[4:5]
	v_add_u32_e32 v2, 0x80, v7
	v_cmp_gt_u32_e64 s[4:5], s90, v2
	v_mov_b32_e32 v40, 0xffff
	v_mov_b32_e32 v10, -1
	v_mov_b32_e32 v11, -1
	v_mov_b32_e32 v34, 0xffff
	s_and_saveexec_b64 s[6:7], s[4:5]
	s_cbranch_execz .LBB25_7
; %bb.6:
	global_load_ushort v11, v[4:5], off offset:256
	s_waitcnt vmcnt(0)
	v_and_b32_e32 v34, 0xffff, v11
.LBB25_7:
	s_or_b64 exec, exec, s[6:7]
	v_add_u32_e32 v2, 0xc0, v7
	v_cmp_gt_u32_e64 s[6:7], s90, v2
	s_and_saveexec_b64 s[8:9], s[6:7]
	s_cbranch_execz .LBB25_9
; %bb.8:
	global_load_ushort v10, v[4:5], off offset:384
	s_waitcnt vmcnt(0)
	v_and_b32_e32 v40, 0xffff, v10
.LBB25_9:
	s_or_b64 exec, exec, s[8:9]
	v_add_u32_e32 v2, 0x100, v7
	v_cmp_gt_u32_e64 s[8:9], s90, v2
	v_mov_b32_e32 v48, 0xffff
	v_mov_b32_e32 v12, -1
	v_mov_b32_e32 v13, -1
	v_mov_b32_e32 v44, 0xffff
	s_and_saveexec_b64 s[10:11], s[8:9]
	s_cbranch_execz .LBB25_11
; %bb.10:
	global_load_ushort v13, v[4:5], off offset:512
	s_waitcnt vmcnt(0)
	v_and_b32_e32 v44, 0xffff, v13
.LBB25_11:
	;; [unrolled: 24-line block ×8, first 2 shown]
	s_or_b64 exec, exec, s[36:37]
	v_add_u32_e32 v7, 0x440, v7
	v_and_b32_e32 v2, 0x3ff, v0
	v_cmp_gt_u32_e64 s[36:37], s90, v7
	s_and_saveexec_b64 s[38:39], s[36:37]
	s_cbranch_execz .LBB25_37
; %bb.36:
	global_load_ushort v26, v[4:5], off offset:2176
	s_waitcnt vmcnt(0)
	v_and_b32_e32 v31, 0xffff, v26
.LBB25_37:
	s_or_b64 exec, exec, s[38:39]
	s_load_dword s38, s[0:1], 0x5c
	s_load_dword s33, s[0:1], 0x50
	s_add_u32 s39, s0, 0x50
	s_addc_u32 s40, s1, 0
	v_mov_b32_e32 v5, 0
	s_waitcnt lgkmcnt(0)
	s_lshr_b32 s41, s38, 16
	s_cmp_lt_u32 s2, s33
	s_cselect_b32 s38, 12, 18
	s_add_u32 s38, s39, s38
	s_addc_u32 s39, s40, 0
	global_load_ushort v29, v5, s[38:39]
	v_lshrrev_b32_e32 v33, s88, v6
	s_lshl_b32 s38, -1, s89
	v_bfe_u32 v4, v0, 10, 10
	v_bfe_u32 v7, v0, 20, 10
	v_bitop3_b32 v41, v33, s38, v33 bitop3:0x30
	v_mad_u32_u24 v39, v7, s41, v4
	v_and_b32_e32 v4, 1, v41
	v_lshlrev_b32_e32 v7, 30, v41
	v_mov_b32_e32 v6, v5
	v_mov_b32_e32 v36, v5
	s_not_b32 s96, s38
	v_lshlrev_b32_e32 v33, 29, v41
	v_lshlrev_b32_e32 v37, 28, v41
	v_lshl_add_u64 v[68:69], v[4:5], 0, -1
	v_cmp_ne_u32_e64 s[38:39], 0, v4
	v_not_b32_e32 v4, v7
	v_mov_b32_e32 v32, v5
	v_cmp_gt_i64_e64 s[40:41], 0, v[6:7]
	v_not_b32_e32 v6, v33
	v_cmp_gt_i64_e64 s[44:45], 0, v[36:37]
	v_not_b32_e32 v7, v37
	v_xor_b32_e32 v37, s39, v69
	v_ashrrev_i32_e32 v4, 31, v4
	v_mul_u32_u24_e32 v43, 20, v41
	v_lshlrev_b32_e32 v55, 27, v41
	v_lshlrev_b32_e32 v63, 26, v41
	;; [unrolled: 1-line block ×4, first 2 shown]
	v_cmp_gt_i64_e64 s[42:43], 0, v[32:33]
	v_xor_b32_e32 v41, s38, v68
	v_ashrrev_i32_e32 v6, 31, v6
	v_and_b32_e32 v37, exec_hi, v37
	v_xor_b32_e32 v45, s41, v4
	v_mov_b32_e32 v54, v5
	v_not_b32_e32 v32, v55
	v_ashrrev_i32_e32 v7, 31, v7
	v_and_b32_e32 v41, exec_lo, v41
	v_xor_b32_e32 v4, s40, v4
	v_xor_b32_e32 v47, s43, v6
	v_and_b32_e32 v37, v37, v45
	v_mov_b32_e32 v62, v5
	v_cmp_gt_i64_e64 s[46:47], 0, v[54:55]
	v_not_b32_e32 v33, v63
	v_ashrrev_i32_e32 v32, 31, v32
	v_xor_b32_e32 v6, s42, v6
	v_xor_b32_e32 v49, s45, v7
	v_and_b32_e32 v4, v41, v4
	v_and_b32_e32 v37, v37, v47
	v_mov_b32_e32 v64, v5
	v_cmp_gt_i64_e64 s[48:49], 0, v[62:63]
	v_not_b32_e32 v36, v65
	v_ashrrev_i32_e32 v33, 31, v33
	v_xor_b32_e32 v51, s47, v32
	v_and_b32_e32 v4, v4, v6
	v_and_b32_e32 v6, v37, v49
	v_cmp_gt_i64_e64 s[50:51], 0, v[64:65]
	v_ashrrev_i32_e32 v36, 31, v36
	v_xor_b32_e32 v7, s44, v7
	v_xor_b32_e32 v54, s49, v33
	v_and_b32_e32 v6, v6, v51
	v_xor_b32_e32 v32, s46, v32
	v_xor_b32_e32 v55, s51, v36
	v_and_b32_e32 v4, v4, v7
	v_and_b32_e32 v6, v6, v54
	v_xor_b32_e32 v33, s48, v33
	v_and_b32_e32 v4, v4, v32
	v_and_b32_e32 v32, v6, v55
	v_xor_b32_e32 v36, s50, v36
	v_and_b32_e32 v4, v4, v33
	v_mov_b32_e32 v66, v5
	v_and_b32_e32 v4, v4, v36
	v_mul_u32_u24_e32 v28, 20, v2
	ds_write2_b32 v28, v5, v5 offset0:4 offset1:5
	ds_write2_b32 v28, v5, v5 offset0:6 offset1:7
	ds_write_b32 v28, v5 offset:32
	s_waitcnt lgkmcnt(0)
	s_barrier
	s_waitcnt vmcnt(0)
	; wave barrier
	v_mad_u64_u32 v[6:7], s[38:39], v39, v29, v[2:3]
	v_lshrrev_b32_e32 v6, 4, v6
	v_and_b32_e32 v36, 0xffffffc, v6
	v_not_b32_e32 v6, v67
	v_cmp_gt_i64_e64 s[38:39], 0, v[66:67]
	v_ashrrev_i32_e32 v6, 31, v6
	s_nop 0
	v_xor_b32_e32 v7, s39, v6
	v_xor_b32_e32 v6, s38, v6
	v_and_b32_e32 v6, v4, v6
	v_and_b32_e32 v7, v32, v7
	v_mbcnt_lo_u32_b32 v4, v6, 0
	v_mbcnt_hi_u32_b32 v29, v7, v4
	v_cmp_eq_u32_e64 s[38:39], 0, v29
	v_cmp_ne_u64_e64 s[40:41], 0, v[6:7]
	s_and_b64 s[40:41], s[40:41], s[38:39]
	v_add_u32_e32 v32, v36, v43
	s_and_saveexec_b64 s[38:39], s[40:41]
; %bb.38:
	v_bcnt_u32_b32 v4, v6, 0
	v_bcnt_u32_b32 v4, v7, v4
	ds_write_b32 v32, v4 offset:16
; %bb.39:
	s_or_b64 exec, exec, s[38:39]
	v_lshrrev_b32_e32 v4, s88, v30
	v_and_b32_e32 v33, s96, v4
	v_mad_u32_u24 v4, v33, 20, v36
	; wave barrier
	ds_read_b32 v30, v4 offset:16
	v_and_b32_e32 v4, 1, v33
	v_lshl_add_u64 v[6:7], v[4:5], 0, -1
	v_cmp_ne_u32_e64 s[38:39], 0, v4
	v_mul_u32_u24_e32 v37, 20, v33
	v_add_u32_e32 v37, v36, v37
	v_xor_b32_e32 v6, s38, v6
	v_xor_b32_e32 v4, s39, v7
	v_and_b32_e32 v39, exec_lo, v6
	v_lshlrev_b32_e32 v7, 30, v33
	v_mov_b32_e32 v6, v5
	v_cmp_gt_i64_e64 s[38:39], 0, v[6:7]
	v_not_b32_e32 v6, v7
	v_ashrrev_i32_e32 v6, 31, v6
	v_and_b32_e32 v4, exec_hi, v4
	v_xor_b32_e32 v7, s39, v6
	v_xor_b32_e32 v6, s38, v6
	v_and_b32_e32 v4, v4, v7
	v_and_b32_e32 v39, v39, v6
	v_lshlrev_b32_e32 v7, 29, v33
	v_mov_b32_e32 v6, v5
	v_cmp_gt_i64_e64 s[38:39], 0, v[6:7]
	v_not_b32_e32 v6, v7
	v_ashrrev_i32_e32 v6, 31, v6
	v_xor_b32_e32 v7, s39, v6
	v_xor_b32_e32 v6, s38, v6
	v_and_b32_e32 v4, v4, v7
	v_and_b32_e32 v39, v39, v6
	v_lshlrev_b32_e32 v7, 28, v33
	v_mov_b32_e32 v6, v5
	v_cmp_gt_i64_e64 s[38:39], 0, v[6:7]
	v_not_b32_e32 v6, v7
	v_ashrrev_i32_e32 v6, 31, v6
	;; [unrolled: 9-line block ×5, first 2 shown]
	v_xor_b32_e32 v7, s39, v6
	v_xor_b32_e32 v6, s38, v6
	v_and_b32_e32 v4, v4, v7
	v_lshlrev_b32_e32 v7, 24, v33
	v_and_b32_e32 v39, v39, v6
	v_mov_b32_e32 v6, v5
	v_not_b32_e32 v5, v7
	v_cmp_gt_i64_e64 s[38:39], 0, v[6:7]
	v_ashrrev_i32_e32 v5, 31, v5
	s_nop 0
	v_xor_b32_e32 v6, s39, v5
	v_xor_b32_e32 v7, s38, v5
	v_and_b32_e32 v5, v4, v6
	v_and_b32_e32 v4, v39, v7
	v_mbcnt_lo_u32_b32 v6, v4, 0
	v_mbcnt_hi_u32_b32 v33, v5, v6
	v_cmp_eq_u32_e64 s[38:39], 0, v33
	v_cmp_ne_u64_e64 s[40:41], 0, v[4:5]
	s_and_b64 s[40:41], s[40:41], s[38:39]
	; wave barrier
	s_and_saveexec_b64 s[38:39], s[40:41]
	s_cbranch_execz .LBB25_41
; %bb.40:
	v_bcnt_u32_b32 v4, v4, 0
	v_bcnt_u32_b32 v4, v5, v4
	s_waitcnt lgkmcnt(0)
	v_add_u32_e32 v4, v30, v4
	ds_write_b32 v37, v4 offset:16
.LBB25_41:
	s_or_b64 exec, exec, s[38:39]
	v_lshrrev_b32_e32 v4, s88, v34
	v_and_b32_e32 v39, s96, v4
	v_mad_u32_u24 v4, v39, 20, v36
	; wave barrier
	ds_read_b32 v34, v4 offset:16
	v_and_b32_e32 v4, 1, v39
	v_mov_b32_e32 v5, 0
	v_lshl_add_u64 v[6:7], v[4:5], 0, -1
	v_cmp_ne_u32_e64 s[38:39], 0, v4
	v_mul_u32_u24_e32 v41, 20, v39
	v_add_u32_e32 v41, v36, v41
	v_xor_b32_e32 v6, s38, v6
	v_xor_b32_e32 v4, s39, v7
	v_and_b32_e32 v43, exec_lo, v6
	v_lshlrev_b32_e32 v7, 30, v39
	v_mov_b32_e32 v6, v5
	v_cmp_gt_i64_e64 s[38:39], 0, v[6:7]
	v_not_b32_e32 v6, v7
	v_ashrrev_i32_e32 v6, 31, v6
	v_and_b32_e32 v4, exec_hi, v4
	v_xor_b32_e32 v7, s39, v6
	v_xor_b32_e32 v6, s38, v6
	v_and_b32_e32 v4, v4, v7
	v_and_b32_e32 v43, v43, v6
	v_lshlrev_b32_e32 v7, 29, v39
	v_mov_b32_e32 v6, v5
	v_cmp_gt_i64_e64 s[38:39], 0, v[6:7]
	v_not_b32_e32 v6, v7
	v_ashrrev_i32_e32 v6, 31, v6
	v_xor_b32_e32 v7, s39, v6
	v_xor_b32_e32 v6, s38, v6
	v_and_b32_e32 v4, v4, v7
	v_and_b32_e32 v43, v43, v6
	v_lshlrev_b32_e32 v7, 28, v39
	v_mov_b32_e32 v6, v5
	v_cmp_gt_i64_e64 s[38:39], 0, v[6:7]
	v_not_b32_e32 v6, v7
	v_ashrrev_i32_e32 v6, 31, v6
	;; [unrolled: 9-line block ×6, first 2 shown]
	v_xor_b32_e32 v7, s39, v6
	v_xor_b32_e32 v6, s38, v6
	v_and_b32_e32 v6, v43, v6
	v_and_b32_e32 v7, v4, v7
	v_mbcnt_lo_u32_b32 v4, v6, 0
	v_mbcnt_hi_u32_b32 v39, v7, v4
	v_cmp_eq_u32_e64 s[38:39], 0, v39
	v_cmp_ne_u64_e64 s[40:41], 0, v[6:7]
	s_and_b64 s[40:41], s[40:41], s[38:39]
	; wave barrier
	s_and_saveexec_b64 s[38:39], s[40:41]
	s_cbranch_execz .LBB25_43
; %bb.42:
	v_bcnt_u32_b32 v4, v6, 0
	v_bcnt_u32_b32 v4, v7, v4
	s_waitcnt lgkmcnt(0)
	v_add_u32_e32 v4, v34, v4
	ds_write_b32 v41, v4 offset:16
.LBB25_43:
	s_or_b64 exec, exec, s[38:39]
	v_lshrrev_b32_e32 v4, s88, v40
	v_and_b32_e32 v43, s96, v4
	v_mad_u32_u24 v4, v43, 20, v36
	; wave barrier
	ds_read_b32 v40, v4 offset:16
	v_and_b32_e32 v4, 1, v43
	v_lshl_add_u64 v[6:7], v[4:5], 0, -1
	v_cmp_ne_u32_e64 s[38:39], 0, v4
	v_mul_u32_u24_e32 v45, 20, v43
	v_add_u32_e32 v45, v36, v45
	v_xor_b32_e32 v6, s38, v6
	v_xor_b32_e32 v4, s39, v7
	v_and_b32_e32 v47, exec_lo, v6
	v_lshlrev_b32_e32 v7, 30, v43
	v_mov_b32_e32 v6, v5
	v_cmp_gt_i64_e64 s[38:39], 0, v[6:7]
	v_not_b32_e32 v6, v7
	v_ashrrev_i32_e32 v6, 31, v6
	v_and_b32_e32 v4, exec_hi, v4
	v_xor_b32_e32 v7, s39, v6
	v_xor_b32_e32 v6, s38, v6
	v_and_b32_e32 v4, v4, v7
	v_and_b32_e32 v47, v47, v6
	v_lshlrev_b32_e32 v7, 29, v43
	v_mov_b32_e32 v6, v5
	v_cmp_gt_i64_e64 s[38:39], 0, v[6:7]
	v_not_b32_e32 v6, v7
	v_ashrrev_i32_e32 v6, 31, v6
	v_xor_b32_e32 v7, s39, v6
	v_xor_b32_e32 v6, s38, v6
	v_and_b32_e32 v4, v4, v7
	v_and_b32_e32 v47, v47, v6
	v_lshlrev_b32_e32 v7, 28, v43
	v_mov_b32_e32 v6, v5
	v_cmp_gt_i64_e64 s[38:39], 0, v[6:7]
	v_not_b32_e32 v6, v7
	v_ashrrev_i32_e32 v6, 31, v6
	;; [unrolled: 9-line block ×5, first 2 shown]
	v_xor_b32_e32 v7, s39, v6
	v_xor_b32_e32 v6, s38, v6
	v_and_b32_e32 v4, v4, v7
	v_lshlrev_b32_e32 v7, 24, v43
	v_and_b32_e32 v47, v47, v6
	v_mov_b32_e32 v6, v5
	v_not_b32_e32 v5, v7
	v_cmp_gt_i64_e64 s[38:39], 0, v[6:7]
	v_ashrrev_i32_e32 v5, 31, v5
	s_nop 0
	v_xor_b32_e32 v6, s39, v5
	v_xor_b32_e32 v7, s38, v5
	v_and_b32_e32 v5, v4, v6
	v_and_b32_e32 v4, v47, v7
	v_mbcnt_lo_u32_b32 v6, v4, 0
	v_mbcnt_hi_u32_b32 v43, v5, v6
	v_cmp_eq_u32_e64 s[38:39], 0, v43
	v_cmp_ne_u64_e64 s[40:41], 0, v[4:5]
	s_and_b64 s[40:41], s[40:41], s[38:39]
	; wave barrier
	s_and_saveexec_b64 s[38:39], s[40:41]
	s_cbranch_execz .LBB25_45
; %bb.44:
	v_bcnt_u32_b32 v4, v4, 0
	v_bcnt_u32_b32 v4, v5, v4
	s_waitcnt lgkmcnt(0)
	v_add_u32_e32 v4, v40, v4
	ds_write_b32 v45, v4 offset:16
.LBB25_45:
	s_or_b64 exec, exec, s[38:39]
	v_lshrrev_b32_e32 v4, s88, v44
	v_and_b32_e32 v47, s96, v4
	v_mad_u32_u24 v4, v47, 20, v36
	; wave barrier
	ds_read_b32 v44, v4 offset:16
	v_and_b32_e32 v4, 1, v47
	v_mov_b32_e32 v5, 0
	v_lshl_add_u64 v[6:7], v[4:5], 0, -1
	v_cmp_ne_u32_e64 s[38:39], 0, v4
	v_mul_u32_u24_e32 v49, 20, v47
	v_add_u32_e32 v49, v36, v49
	v_xor_b32_e32 v6, s38, v6
	v_xor_b32_e32 v4, s39, v7
	v_and_b32_e32 v51, exec_lo, v6
	v_lshlrev_b32_e32 v7, 30, v47
	v_mov_b32_e32 v6, v5
	v_cmp_gt_i64_e64 s[38:39], 0, v[6:7]
	v_not_b32_e32 v6, v7
	v_ashrrev_i32_e32 v6, 31, v6
	v_and_b32_e32 v4, exec_hi, v4
	v_xor_b32_e32 v7, s39, v6
	v_xor_b32_e32 v6, s38, v6
	v_and_b32_e32 v4, v4, v7
	v_and_b32_e32 v51, v51, v6
	v_lshlrev_b32_e32 v7, 29, v47
	v_mov_b32_e32 v6, v5
	v_cmp_gt_i64_e64 s[38:39], 0, v[6:7]
	v_not_b32_e32 v6, v7
	v_ashrrev_i32_e32 v6, 31, v6
	v_xor_b32_e32 v7, s39, v6
	v_xor_b32_e32 v6, s38, v6
	v_and_b32_e32 v4, v4, v7
	v_and_b32_e32 v51, v51, v6
	v_lshlrev_b32_e32 v7, 28, v47
	v_mov_b32_e32 v6, v5
	v_cmp_gt_i64_e64 s[38:39], 0, v[6:7]
	v_not_b32_e32 v6, v7
	v_ashrrev_i32_e32 v6, 31, v6
	;; [unrolled: 9-line block ×6, first 2 shown]
	v_xor_b32_e32 v7, s39, v6
	v_xor_b32_e32 v6, s38, v6
	v_and_b32_e32 v6, v51, v6
	v_and_b32_e32 v7, v4, v7
	v_mbcnt_lo_u32_b32 v4, v6, 0
	v_mbcnt_hi_u32_b32 v47, v7, v4
	v_cmp_eq_u32_e64 s[38:39], 0, v47
	v_cmp_ne_u64_e64 s[40:41], 0, v[6:7]
	s_and_b64 s[40:41], s[40:41], s[38:39]
	; wave barrier
	s_and_saveexec_b64 s[38:39], s[40:41]
	s_cbranch_execz .LBB25_47
; %bb.46:
	v_bcnt_u32_b32 v4, v6, 0
	v_bcnt_u32_b32 v4, v7, v4
	s_waitcnt lgkmcnt(0)
	v_add_u32_e32 v4, v44, v4
	ds_write_b32 v49, v4 offset:16
.LBB25_47:
	s_or_b64 exec, exec, s[38:39]
	v_lshrrev_b32_e32 v4, s88, v48
	v_and_b32_e32 v51, s96, v4
	v_mad_u32_u24 v4, v51, 20, v36
	; wave barrier
	ds_read_b32 v48, v4 offset:16
	v_and_b32_e32 v4, 1, v51
	v_lshl_add_u64 v[6:7], v[4:5], 0, -1
	v_cmp_ne_u32_e64 s[38:39], 0, v4
	v_mul_u32_u24_e32 v54, 20, v51
	v_add_u32_e32 v54, v36, v54
	v_xor_b32_e32 v6, s38, v6
	v_xor_b32_e32 v4, s39, v7
	v_and_b32_e32 v55, exec_lo, v6
	v_lshlrev_b32_e32 v7, 30, v51
	v_mov_b32_e32 v6, v5
	v_cmp_gt_i64_e64 s[38:39], 0, v[6:7]
	v_not_b32_e32 v6, v7
	v_ashrrev_i32_e32 v6, 31, v6
	v_and_b32_e32 v4, exec_hi, v4
	v_xor_b32_e32 v7, s39, v6
	v_xor_b32_e32 v6, s38, v6
	v_and_b32_e32 v4, v4, v7
	v_and_b32_e32 v55, v55, v6
	v_lshlrev_b32_e32 v7, 29, v51
	v_mov_b32_e32 v6, v5
	v_cmp_gt_i64_e64 s[38:39], 0, v[6:7]
	v_not_b32_e32 v6, v7
	v_ashrrev_i32_e32 v6, 31, v6
	v_xor_b32_e32 v7, s39, v6
	v_xor_b32_e32 v6, s38, v6
	v_and_b32_e32 v4, v4, v7
	v_and_b32_e32 v55, v55, v6
	v_lshlrev_b32_e32 v7, 28, v51
	v_mov_b32_e32 v6, v5
	v_cmp_gt_i64_e64 s[38:39], 0, v[6:7]
	v_not_b32_e32 v6, v7
	v_ashrrev_i32_e32 v6, 31, v6
	;; [unrolled: 9-line block ×5, first 2 shown]
	v_xor_b32_e32 v7, s39, v6
	v_xor_b32_e32 v6, s38, v6
	v_and_b32_e32 v4, v4, v7
	v_lshlrev_b32_e32 v7, 24, v51
	v_and_b32_e32 v55, v55, v6
	v_mov_b32_e32 v6, v5
	v_not_b32_e32 v5, v7
	v_cmp_gt_i64_e64 s[38:39], 0, v[6:7]
	v_ashrrev_i32_e32 v5, 31, v5
	s_nop 0
	v_xor_b32_e32 v6, s39, v5
	v_xor_b32_e32 v7, s38, v5
	v_and_b32_e32 v5, v4, v6
	v_and_b32_e32 v4, v55, v7
	v_mbcnt_lo_u32_b32 v6, v4, 0
	v_mbcnt_hi_u32_b32 v51, v5, v6
	v_cmp_eq_u32_e64 s[38:39], 0, v51
	v_cmp_ne_u64_e64 s[40:41], 0, v[4:5]
	s_and_b64 s[40:41], s[40:41], s[38:39]
	; wave barrier
	s_and_saveexec_b64 s[38:39], s[40:41]
	s_cbranch_execz .LBB25_49
; %bb.48:
	v_bcnt_u32_b32 v4, v4, 0
	v_bcnt_u32_b32 v4, v5, v4
	s_waitcnt lgkmcnt(0)
	v_add_u32_e32 v4, v48, v4
	ds_write_b32 v54, v4 offset:16
.LBB25_49:
	s_or_b64 exec, exec, s[38:39]
	v_lshrrev_b32_e32 v4, s88, v52
	v_and_b32_e32 v55, s96, v4
	v_mad_u32_u24 v4, v55, 20, v36
	; wave barrier
	ds_read_b32 v52, v4 offset:16
	v_and_b32_e32 v4, 1, v55
	v_mov_b32_e32 v5, 0
	v_lshl_add_u64 v[6:7], v[4:5], 0, -1
	v_cmp_ne_u32_e64 s[38:39], 0, v4
	v_mul_u32_u24_e32 v58, 20, v55
	v_add_u32_e32 v58, v36, v58
	v_xor_b32_e32 v6, s38, v6
	v_xor_b32_e32 v4, s39, v7
	v_and_b32_e32 v60, exec_lo, v6
	v_lshlrev_b32_e32 v7, 30, v55
	v_mov_b32_e32 v6, v5
	v_cmp_gt_i64_e64 s[38:39], 0, v[6:7]
	v_not_b32_e32 v6, v7
	v_ashrrev_i32_e32 v6, 31, v6
	v_and_b32_e32 v4, exec_hi, v4
	v_xor_b32_e32 v7, s39, v6
	v_xor_b32_e32 v6, s38, v6
	v_and_b32_e32 v4, v4, v7
	v_and_b32_e32 v60, v60, v6
	v_lshlrev_b32_e32 v7, 29, v55
	v_mov_b32_e32 v6, v5
	v_cmp_gt_i64_e64 s[38:39], 0, v[6:7]
	v_not_b32_e32 v6, v7
	v_ashrrev_i32_e32 v6, 31, v6
	v_xor_b32_e32 v7, s39, v6
	v_xor_b32_e32 v6, s38, v6
	v_and_b32_e32 v4, v4, v7
	v_and_b32_e32 v60, v60, v6
	v_lshlrev_b32_e32 v7, 28, v55
	v_mov_b32_e32 v6, v5
	v_cmp_gt_i64_e64 s[38:39], 0, v[6:7]
	v_not_b32_e32 v6, v7
	v_ashrrev_i32_e32 v6, 31, v6
	;; [unrolled: 9-line block ×6, first 2 shown]
	v_xor_b32_e32 v7, s39, v6
	v_xor_b32_e32 v6, s38, v6
	v_and_b32_e32 v6, v60, v6
	v_and_b32_e32 v7, v4, v7
	v_mbcnt_lo_u32_b32 v4, v6, 0
	v_mbcnt_hi_u32_b32 v55, v7, v4
	v_cmp_eq_u32_e64 s[38:39], 0, v55
	v_cmp_ne_u64_e64 s[40:41], 0, v[6:7]
	s_and_b64 s[40:41], s[40:41], s[38:39]
	; wave barrier
	s_and_saveexec_b64 s[38:39], s[40:41]
	s_cbranch_execz .LBB25_51
; %bb.50:
	v_bcnt_u32_b32 v4, v6, 0
	v_bcnt_u32_b32 v4, v7, v4
	s_waitcnt lgkmcnt(0)
	v_add_u32_e32 v4, v52, v4
	ds_write_b32 v58, v4 offset:16
.LBB25_51:
	s_or_b64 exec, exec, s[38:39]
	v_lshrrev_b32_e32 v4, s88, v56
	v_and_b32_e32 v60, s96, v4
	v_mad_u32_u24 v4, v60, 20, v36
	; wave barrier
	ds_read_b32 v56, v4 offset:16
	v_and_b32_e32 v4, 1, v60
	v_lshl_add_u64 v[6:7], v[4:5], 0, -1
	v_cmp_ne_u32_e64 s[38:39], 0, v4
	v_mul_u32_u24_e32 v62, 20, v60
	v_add_u32_e32 v62, v36, v62
	v_xor_b32_e32 v6, s38, v6
	v_xor_b32_e32 v4, s39, v7
	v_and_b32_e32 v63, exec_lo, v6
	v_lshlrev_b32_e32 v7, 30, v60
	v_mov_b32_e32 v6, v5
	v_cmp_gt_i64_e64 s[38:39], 0, v[6:7]
	v_not_b32_e32 v6, v7
	v_ashrrev_i32_e32 v6, 31, v6
	v_and_b32_e32 v4, exec_hi, v4
	v_xor_b32_e32 v7, s39, v6
	v_xor_b32_e32 v6, s38, v6
	v_and_b32_e32 v4, v4, v7
	v_and_b32_e32 v63, v63, v6
	v_lshlrev_b32_e32 v7, 29, v60
	v_mov_b32_e32 v6, v5
	v_cmp_gt_i64_e64 s[38:39], 0, v[6:7]
	v_not_b32_e32 v6, v7
	v_ashrrev_i32_e32 v6, 31, v6
	v_xor_b32_e32 v7, s39, v6
	v_xor_b32_e32 v6, s38, v6
	v_and_b32_e32 v4, v4, v7
	v_and_b32_e32 v63, v63, v6
	v_lshlrev_b32_e32 v7, 28, v60
	v_mov_b32_e32 v6, v5
	v_cmp_gt_i64_e64 s[38:39], 0, v[6:7]
	v_not_b32_e32 v6, v7
	v_ashrrev_i32_e32 v6, 31, v6
	;; [unrolled: 9-line block ×5, first 2 shown]
	v_xor_b32_e32 v7, s39, v6
	v_xor_b32_e32 v6, s38, v6
	v_and_b32_e32 v4, v4, v7
	v_lshlrev_b32_e32 v7, 24, v60
	v_and_b32_e32 v63, v63, v6
	v_mov_b32_e32 v6, v5
	v_not_b32_e32 v5, v7
	v_cmp_gt_i64_e64 s[38:39], 0, v[6:7]
	v_ashrrev_i32_e32 v5, 31, v5
	s_nop 0
	v_xor_b32_e32 v6, s39, v5
	v_xor_b32_e32 v7, s38, v5
	v_and_b32_e32 v5, v4, v6
	v_and_b32_e32 v4, v63, v7
	v_mbcnt_lo_u32_b32 v6, v4, 0
	v_mbcnt_hi_u32_b32 v60, v5, v6
	v_cmp_eq_u32_e64 s[38:39], 0, v60
	v_cmp_ne_u64_e64 s[40:41], 0, v[4:5]
	s_and_b64 s[40:41], s[40:41], s[38:39]
	; wave barrier
	s_and_saveexec_b64 s[38:39], s[40:41]
	s_cbranch_execz .LBB25_53
; %bb.52:
	v_bcnt_u32_b32 v4, v4, 0
	v_bcnt_u32_b32 v4, v5, v4
	s_waitcnt lgkmcnt(0)
	v_add_u32_e32 v4, v56, v4
	ds_write_b32 v62, v4 offset:16
.LBB25_53:
	s_or_b64 exec, exec, s[38:39]
	v_lshrrev_b32_e32 v4, s88, v61
	v_and_b32_e32 v63, s96, v4
	v_mad_u32_u24 v4, v63, 20, v36
	; wave barrier
	ds_read_b32 v61, v4 offset:16
	v_and_b32_e32 v4, 1, v63
	v_mov_b32_e32 v5, 0
	v_lshl_add_u64 v[6:7], v[4:5], 0, -1
	v_cmp_ne_u32_e64 s[38:39], 0, v4
	v_mul_u32_u24_e32 v64, 20, v63
	v_add_u32_e32 v64, v36, v64
	v_xor_b32_e32 v6, s38, v6
	v_xor_b32_e32 v4, s39, v7
	v_and_b32_e32 v65, exec_lo, v6
	v_lshlrev_b32_e32 v7, 30, v63
	v_mov_b32_e32 v6, v5
	v_cmp_gt_i64_e64 s[38:39], 0, v[6:7]
	v_not_b32_e32 v6, v7
	v_ashrrev_i32_e32 v6, 31, v6
	v_and_b32_e32 v4, exec_hi, v4
	v_xor_b32_e32 v7, s39, v6
	v_xor_b32_e32 v6, s38, v6
	v_and_b32_e32 v4, v4, v7
	v_and_b32_e32 v65, v65, v6
	v_lshlrev_b32_e32 v7, 29, v63
	v_mov_b32_e32 v6, v5
	v_cmp_gt_i64_e64 s[38:39], 0, v[6:7]
	v_not_b32_e32 v6, v7
	v_ashrrev_i32_e32 v6, 31, v6
	v_xor_b32_e32 v7, s39, v6
	v_xor_b32_e32 v6, s38, v6
	v_and_b32_e32 v4, v4, v7
	v_and_b32_e32 v65, v65, v6
	v_lshlrev_b32_e32 v7, 28, v63
	v_mov_b32_e32 v6, v5
	v_cmp_gt_i64_e64 s[38:39], 0, v[6:7]
	v_not_b32_e32 v6, v7
	v_ashrrev_i32_e32 v6, 31, v6
	;; [unrolled: 9-line block ×6, first 2 shown]
	v_xor_b32_e32 v7, s39, v6
	v_xor_b32_e32 v6, s38, v6
	v_and_b32_e32 v6, v65, v6
	v_and_b32_e32 v7, v4, v7
	v_mbcnt_lo_u32_b32 v4, v6, 0
	v_mbcnt_hi_u32_b32 v63, v7, v4
	v_cmp_eq_u32_e64 s[38:39], 0, v63
	v_cmp_ne_u64_e64 s[40:41], 0, v[6:7]
	s_and_b64 s[40:41], s[40:41], s[38:39]
	; wave barrier
	s_and_saveexec_b64 s[38:39], s[40:41]
	s_cbranch_execz .LBB25_55
; %bb.54:
	v_bcnt_u32_b32 v4, v6, 0
	v_bcnt_u32_b32 v4, v7, v4
	s_waitcnt lgkmcnt(0)
	v_add_u32_e32 v4, v61, v4
	ds_write_b32 v64, v4 offset:16
.LBB25_55:
	s_or_b64 exec, exec, s[38:39]
	v_lshrrev_b32_e32 v4, s88, v59
	v_and_b32_e32 v65, s96, v4
	v_mad_u32_u24 v4, v65, 20, v36
	; wave barrier
	ds_read_b32 v59, v4 offset:16
	v_and_b32_e32 v4, 1, v65
	v_lshl_add_u64 v[6:7], v[4:5], 0, -1
	v_cmp_ne_u32_e64 s[38:39], 0, v4
	v_mul_u32_u24_e32 v66, 20, v65
	v_add_u32_e32 v66, v36, v66
	v_xor_b32_e32 v6, s38, v6
	v_xor_b32_e32 v4, s39, v7
	v_and_b32_e32 v67, exec_lo, v6
	v_lshlrev_b32_e32 v7, 30, v65
	v_mov_b32_e32 v6, v5
	v_cmp_gt_i64_e64 s[38:39], 0, v[6:7]
	v_not_b32_e32 v6, v7
	v_ashrrev_i32_e32 v6, 31, v6
	v_and_b32_e32 v4, exec_hi, v4
	v_xor_b32_e32 v7, s39, v6
	v_xor_b32_e32 v6, s38, v6
	v_and_b32_e32 v4, v4, v7
	v_and_b32_e32 v67, v67, v6
	v_lshlrev_b32_e32 v7, 29, v65
	v_mov_b32_e32 v6, v5
	v_cmp_gt_i64_e64 s[38:39], 0, v[6:7]
	v_not_b32_e32 v6, v7
	v_ashrrev_i32_e32 v6, 31, v6
	v_xor_b32_e32 v7, s39, v6
	v_xor_b32_e32 v6, s38, v6
	v_and_b32_e32 v4, v4, v7
	v_and_b32_e32 v67, v67, v6
	v_lshlrev_b32_e32 v7, 28, v65
	v_mov_b32_e32 v6, v5
	v_cmp_gt_i64_e64 s[38:39], 0, v[6:7]
	v_not_b32_e32 v6, v7
	v_ashrrev_i32_e32 v6, 31, v6
	;; [unrolled: 9-line block ×5, first 2 shown]
	v_xor_b32_e32 v7, s39, v6
	v_xor_b32_e32 v6, s38, v6
	v_and_b32_e32 v4, v4, v7
	v_lshlrev_b32_e32 v7, 24, v65
	v_and_b32_e32 v67, v67, v6
	v_mov_b32_e32 v6, v5
	v_not_b32_e32 v5, v7
	v_cmp_gt_i64_e64 s[38:39], 0, v[6:7]
	v_ashrrev_i32_e32 v5, 31, v5
	s_nop 0
	v_xor_b32_e32 v6, s39, v5
	v_xor_b32_e32 v7, s38, v5
	v_and_b32_e32 v5, v4, v6
	v_and_b32_e32 v4, v67, v7
	v_mbcnt_lo_u32_b32 v6, v4, 0
	v_mbcnt_hi_u32_b32 v65, v5, v6
	v_cmp_eq_u32_e64 s[38:39], 0, v65
	v_cmp_ne_u64_e64 s[40:41], 0, v[4:5]
	s_and_b64 s[40:41], s[40:41], s[38:39]
	; wave barrier
	s_and_saveexec_b64 s[38:39], s[40:41]
	s_cbranch_execz .LBB25_57
; %bb.56:
	v_bcnt_u32_b32 v4, v4, 0
	v_bcnt_u32_b32 v4, v5, v4
	s_waitcnt lgkmcnt(0)
	v_add_u32_e32 v4, v59, v4
	ds_write_b32 v66, v4 offset:16
.LBB25_57:
	s_or_b64 exec, exec, s[38:39]
	v_lshrrev_b32_e32 v4, s88, v57
	v_and_b32_e32 v67, s96, v4
	v_mad_u32_u24 v4, v67, 20, v36
	; wave barrier
	ds_read_b32 v57, v4 offset:16
	v_and_b32_e32 v4, 1, v67
	v_mov_b32_e32 v5, 0
	v_lshl_add_u64 v[6:7], v[4:5], 0, -1
	v_cmp_ne_u32_e64 s[38:39], 0, v4
	v_mul_u32_u24_e32 v68, 20, v67
	v_add_u32_e32 v68, v36, v68
	v_xor_b32_e32 v6, s38, v6
	v_xor_b32_e32 v4, s39, v7
	v_and_b32_e32 v69, exec_lo, v6
	v_lshlrev_b32_e32 v7, 30, v67
	v_mov_b32_e32 v6, v5
	v_cmp_gt_i64_e64 s[38:39], 0, v[6:7]
	v_not_b32_e32 v6, v7
	v_ashrrev_i32_e32 v6, 31, v6
	v_and_b32_e32 v4, exec_hi, v4
	v_xor_b32_e32 v7, s39, v6
	v_xor_b32_e32 v6, s38, v6
	v_and_b32_e32 v4, v4, v7
	v_and_b32_e32 v69, v69, v6
	v_lshlrev_b32_e32 v7, 29, v67
	v_mov_b32_e32 v6, v5
	v_cmp_gt_i64_e64 s[38:39], 0, v[6:7]
	v_not_b32_e32 v6, v7
	v_ashrrev_i32_e32 v6, 31, v6
	v_xor_b32_e32 v7, s39, v6
	v_xor_b32_e32 v6, s38, v6
	v_and_b32_e32 v4, v4, v7
	v_and_b32_e32 v69, v69, v6
	v_lshlrev_b32_e32 v7, 28, v67
	v_mov_b32_e32 v6, v5
	v_cmp_gt_i64_e64 s[38:39], 0, v[6:7]
	v_not_b32_e32 v6, v7
	v_ashrrev_i32_e32 v6, 31, v6
	;; [unrolled: 9-line block ×6, first 2 shown]
	v_xor_b32_e32 v7, s39, v6
	v_xor_b32_e32 v6, s38, v6
	v_and_b32_e32 v6, v69, v6
	v_and_b32_e32 v7, v4, v7
	v_mbcnt_lo_u32_b32 v4, v6, 0
	v_mbcnt_hi_u32_b32 v67, v7, v4
	v_cmp_eq_u32_e64 s[38:39], 0, v67
	v_cmp_ne_u64_e64 s[40:41], 0, v[6:7]
	s_and_b64 s[40:41], s[40:41], s[38:39]
	; wave barrier
	s_and_saveexec_b64 s[38:39], s[40:41]
	s_cbranch_execz .LBB25_59
; %bb.58:
	v_bcnt_u32_b32 v4, v6, 0
	v_bcnt_u32_b32 v4, v7, v4
	s_waitcnt lgkmcnt(0)
	v_add_u32_e32 v4, v57, v4
	ds_write_b32 v68, v4 offset:16
.LBB25_59:
	s_or_b64 exec, exec, s[38:39]
	v_lshrrev_b32_e32 v4, s88, v53
	v_and_b32_e32 v69, s96, v4
	v_mad_u32_u24 v4, v69, 20, v36
	; wave barrier
	ds_read_b32 v53, v4 offset:16
	v_and_b32_e32 v4, 1, v69
	v_lshl_add_u64 v[6:7], v[4:5], 0, -1
	v_cmp_ne_u32_e64 s[38:39], 0, v4
	v_mul_u32_u24_e32 v70, 20, v69
	v_add_u32_e32 v70, v36, v70
	v_xor_b32_e32 v6, s38, v6
	v_xor_b32_e32 v4, s39, v7
	v_and_b32_e32 v71, exec_lo, v6
	v_lshlrev_b32_e32 v7, 30, v69
	v_mov_b32_e32 v6, v5
	v_cmp_gt_i64_e64 s[38:39], 0, v[6:7]
	v_not_b32_e32 v6, v7
	v_ashrrev_i32_e32 v6, 31, v6
	v_and_b32_e32 v4, exec_hi, v4
	v_xor_b32_e32 v7, s39, v6
	v_xor_b32_e32 v6, s38, v6
	v_and_b32_e32 v4, v4, v7
	v_and_b32_e32 v71, v71, v6
	v_lshlrev_b32_e32 v7, 29, v69
	v_mov_b32_e32 v6, v5
	v_cmp_gt_i64_e64 s[38:39], 0, v[6:7]
	v_not_b32_e32 v6, v7
	v_ashrrev_i32_e32 v6, 31, v6
	v_xor_b32_e32 v7, s39, v6
	v_xor_b32_e32 v6, s38, v6
	v_and_b32_e32 v4, v4, v7
	v_and_b32_e32 v71, v71, v6
	v_lshlrev_b32_e32 v7, 28, v69
	v_mov_b32_e32 v6, v5
	v_cmp_gt_i64_e64 s[38:39], 0, v[6:7]
	v_not_b32_e32 v6, v7
	v_ashrrev_i32_e32 v6, 31, v6
	;; [unrolled: 9-line block ×5, first 2 shown]
	v_xor_b32_e32 v7, s39, v6
	v_xor_b32_e32 v6, s38, v6
	v_and_b32_e32 v4, v4, v7
	v_lshlrev_b32_e32 v7, 24, v69
	v_and_b32_e32 v71, v71, v6
	v_mov_b32_e32 v6, v5
	v_not_b32_e32 v5, v7
	v_cmp_gt_i64_e64 s[38:39], 0, v[6:7]
	v_ashrrev_i32_e32 v5, 31, v5
	s_nop 0
	v_xor_b32_e32 v6, s39, v5
	v_xor_b32_e32 v7, s38, v5
	v_and_b32_e32 v5, v4, v6
	v_and_b32_e32 v4, v71, v7
	v_mbcnt_lo_u32_b32 v6, v4, 0
	v_mbcnt_hi_u32_b32 v69, v5, v6
	v_cmp_eq_u32_e64 s[38:39], 0, v69
	v_cmp_ne_u64_e64 s[40:41], 0, v[4:5]
	s_and_b64 s[40:41], s[40:41], s[38:39]
	; wave barrier
	s_and_saveexec_b64 s[38:39], s[40:41]
	s_cbranch_execz .LBB25_61
; %bb.60:
	v_bcnt_u32_b32 v4, v4, 0
	v_bcnt_u32_b32 v4, v5, v4
	s_waitcnt lgkmcnt(0)
	v_add_u32_e32 v4, v53, v4
	ds_write_b32 v70, v4 offset:16
.LBB25_61:
	s_or_b64 exec, exec, s[38:39]
	v_lshrrev_b32_e32 v4, s88, v50
	v_and_b32_e32 v71, s96, v4
	v_mad_u32_u24 v4, v71, 20, v36
	; wave barrier
	ds_read_b32 v50, v4 offset:16
	v_and_b32_e32 v4, 1, v71
	v_mov_b32_e32 v5, 0
	v_lshl_add_u64 v[6:7], v[4:5], 0, -1
	v_cmp_ne_u32_e64 s[38:39], 0, v4
	v_mul_u32_u24_e32 v72, 20, v71
	v_add_u32_e32 v72, v36, v72
	v_xor_b32_e32 v6, s38, v6
	v_xor_b32_e32 v4, s39, v7
	v_and_b32_e32 v73, exec_lo, v6
	v_lshlrev_b32_e32 v7, 30, v71
	v_mov_b32_e32 v6, v5
	v_cmp_gt_i64_e64 s[38:39], 0, v[6:7]
	v_not_b32_e32 v6, v7
	v_ashrrev_i32_e32 v6, 31, v6
	v_and_b32_e32 v4, exec_hi, v4
	v_xor_b32_e32 v7, s39, v6
	v_xor_b32_e32 v6, s38, v6
	v_and_b32_e32 v4, v4, v7
	v_and_b32_e32 v73, v73, v6
	v_lshlrev_b32_e32 v7, 29, v71
	v_mov_b32_e32 v6, v5
	v_cmp_gt_i64_e64 s[38:39], 0, v[6:7]
	v_not_b32_e32 v6, v7
	v_ashrrev_i32_e32 v6, 31, v6
	v_xor_b32_e32 v7, s39, v6
	v_xor_b32_e32 v6, s38, v6
	v_and_b32_e32 v4, v4, v7
	v_and_b32_e32 v73, v73, v6
	v_lshlrev_b32_e32 v7, 28, v71
	v_mov_b32_e32 v6, v5
	v_cmp_gt_i64_e64 s[38:39], 0, v[6:7]
	v_not_b32_e32 v6, v7
	v_ashrrev_i32_e32 v6, 31, v6
	;; [unrolled: 9-line block ×6, first 2 shown]
	v_xor_b32_e32 v7, s39, v6
	v_xor_b32_e32 v6, s38, v6
	v_and_b32_e32 v6, v73, v6
	v_and_b32_e32 v7, v4, v7
	v_mbcnt_lo_u32_b32 v4, v6, 0
	v_mbcnt_hi_u32_b32 v71, v7, v4
	v_cmp_eq_u32_e64 s[38:39], 0, v71
	v_cmp_ne_u64_e64 s[40:41], 0, v[6:7]
	s_and_b64 s[40:41], s[40:41], s[38:39]
	; wave barrier
	s_and_saveexec_b64 s[38:39], s[40:41]
	s_cbranch_execz .LBB25_63
; %bb.62:
	v_bcnt_u32_b32 v4, v6, 0
	v_bcnt_u32_b32 v4, v7, v4
	s_waitcnt lgkmcnt(0)
	v_add_u32_e32 v4, v50, v4
	ds_write_b32 v72, v4 offset:16
.LBB25_63:
	s_or_b64 exec, exec, s[38:39]
	v_lshrrev_b32_e32 v4, s88, v46
	v_and_b32_e32 v73, s96, v4
	v_mad_u32_u24 v4, v73, 20, v36
	; wave barrier
	ds_read_b32 v46, v4 offset:16
	v_and_b32_e32 v4, 1, v73
	v_lshl_add_u64 v[6:7], v[4:5], 0, -1
	v_cmp_ne_u32_e64 s[38:39], 0, v4
	v_mul_u32_u24_e32 v74, 20, v73
	s_nop 0
	v_xor_b32_e32 v6, s38, v6
	v_xor_b32_e32 v4, s39, v7
	v_and_b32_e32 v75, exec_lo, v6
	v_lshlrev_b32_e32 v7, 30, v73
	v_mov_b32_e32 v6, v5
	v_cmp_gt_i64_e64 s[38:39], 0, v[6:7]
	v_not_b32_e32 v6, v7
	v_ashrrev_i32_e32 v6, 31, v6
	v_and_b32_e32 v4, exec_hi, v4
	v_xor_b32_e32 v7, s39, v6
	v_xor_b32_e32 v6, s38, v6
	v_and_b32_e32 v4, v4, v7
	v_and_b32_e32 v75, v75, v6
	v_lshlrev_b32_e32 v7, 29, v73
	v_mov_b32_e32 v6, v5
	v_cmp_gt_i64_e64 s[38:39], 0, v[6:7]
	v_not_b32_e32 v6, v7
	v_ashrrev_i32_e32 v6, 31, v6
	v_xor_b32_e32 v7, s39, v6
	v_xor_b32_e32 v6, s38, v6
	v_and_b32_e32 v4, v4, v7
	v_and_b32_e32 v75, v75, v6
	v_lshlrev_b32_e32 v7, 28, v73
	v_mov_b32_e32 v6, v5
	v_cmp_gt_i64_e64 s[38:39], 0, v[6:7]
	v_not_b32_e32 v6, v7
	v_ashrrev_i32_e32 v6, 31, v6
	;; [unrolled: 9-line block ×5, first 2 shown]
	v_xor_b32_e32 v7, s39, v6
	v_xor_b32_e32 v6, s38, v6
	v_and_b32_e32 v4, v4, v7
	v_lshlrev_b32_e32 v7, 24, v73
	v_and_b32_e32 v75, v75, v6
	v_mov_b32_e32 v6, v5
	v_not_b32_e32 v5, v7
	v_cmp_gt_i64_e64 s[38:39], 0, v[6:7]
	v_ashrrev_i32_e32 v5, 31, v5
	; wave barrier
	s_nop 0
	v_xor_b32_e32 v6, s39, v5
	v_xor_b32_e32 v7, s38, v5
	v_and_b32_e32 v5, v4, v6
	v_and_b32_e32 v4, v75, v7
	v_mbcnt_lo_u32_b32 v6, v4, 0
	v_mbcnt_hi_u32_b32 v73, v5, v6
	v_cmp_eq_u32_e64 s[38:39], 0, v73
	v_cmp_ne_u64_e64 s[40:41], 0, v[4:5]
	s_and_b64 s[40:41], s[40:41], s[38:39]
	v_add_u32_e32 v75, v36, v74
	s_and_saveexec_b64 s[38:39], s[40:41]
	s_cbranch_execz .LBB25_65
; %bb.64:
	v_bcnt_u32_b32 v4, v4, 0
	v_bcnt_u32_b32 v4, v5, v4
	s_waitcnt lgkmcnt(0)
	v_add_u32_e32 v4, v46, v4
	ds_write_b32 v75, v4 offset:16
.LBB25_65:
	s_or_b64 exec, exec, s[38:39]
	v_lshrrev_b32_e32 v4, s88, v42
	v_and_b32_e32 v42, s96, v4
	v_mad_u32_u24 v4, v42, 20, v36
	; wave barrier
	ds_read_b32 v74, v4 offset:16
	v_and_b32_e32 v4, 1, v42
	v_mov_b32_e32 v5, 0
	v_lshl_add_u64 v[6:7], v[4:5], 0, -1
	v_cmp_ne_u32_e64 s[38:39], 0, v4
	v_mul_u32_u24_e32 v77, 20, v42
	s_nop 0
	v_xor_b32_e32 v6, s38, v6
	v_xor_b32_e32 v4, s39, v7
	v_and_b32_e32 v76, exec_lo, v6
	v_lshlrev_b32_e32 v7, 30, v42
	v_mov_b32_e32 v6, v5
	v_cmp_gt_i64_e64 s[38:39], 0, v[6:7]
	v_not_b32_e32 v6, v7
	v_ashrrev_i32_e32 v6, 31, v6
	v_and_b32_e32 v4, exec_hi, v4
	v_xor_b32_e32 v7, s39, v6
	v_xor_b32_e32 v6, s38, v6
	v_and_b32_e32 v4, v4, v7
	v_and_b32_e32 v76, v76, v6
	v_lshlrev_b32_e32 v7, 29, v42
	v_mov_b32_e32 v6, v5
	v_cmp_gt_i64_e64 s[38:39], 0, v[6:7]
	v_not_b32_e32 v6, v7
	v_ashrrev_i32_e32 v6, 31, v6
	v_xor_b32_e32 v7, s39, v6
	v_xor_b32_e32 v6, s38, v6
	v_and_b32_e32 v4, v4, v7
	v_and_b32_e32 v76, v76, v6
	v_lshlrev_b32_e32 v7, 28, v42
	v_mov_b32_e32 v6, v5
	v_cmp_gt_i64_e64 s[38:39], 0, v[6:7]
	v_not_b32_e32 v6, v7
	v_ashrrev_i32_e32 v6, 31, v6
	;; [unrolled: 9-line block ×6, first 2 shown]
	v_xor_b32_e32 v7, s39, v6
	v_xor_b32_e32 v6, s38, v6
	v_and_b32_e32 v6, v76, v6
	v_and_b32_e32 v7, v4, v7
	v_mbcnt_lo_u32_b32 v4, v6, 0
	v_mbcnt_hi_u32_b32 v76, v7, v4
	v_cmp_eq_u32_e64 s[38:39], 0, v76
	v_cmp_ne_u64_e64 s[40:41], 0, v[6:7]
	s_and_b64 s[40:41], s[40:41], s[38:39]
	v_add_u32_e32 v42, v36, v77
	; wave barrier
	s_and_saveexec_b64 s[38:39], s[40:41]
	s_cbranch_execz .LBB25_67
; %bb.66:
	v_bcnt_u32_b32 v4, v6, 0
	v_bcnt_u32_b32 v4, v7, v4
	s_waitcnt lgkmcnt(0)
	v_add_u32_e32 v4, v74, v4
	ds_write_b32 v42, v4 offset:16
.LBB25_67:
	s_or_b64 exec, exec, s[38:39]
	v_lshrrev_b32_e32 v4, s88, v38
	v_and_b32_e32 v38, s96, v4
	v_mad_u32_u24 v4, v38, 20, v36
	; wave barrier
	ds_read_b32 v77, v4 offset:16
	v_and_b32_e32 v4, 1, v38
	v_lshl_add_u64 v[6:7], v[4:5], 0, -1
	v_cmp_ne_u32_e64 s[38:39], 0, v4
	v_mul_u32_u24_e32 v79, 20, v38
	s_nop 0
	v_xor_b32_e32 v6, s38, v6
	v_xor_b32_e32 v4, s39, v7
	v_and_b32_e32 v78, exec_lo, v6
	v_lshlrev_b32_e32 v7, 30, v38
	v_mov_b32_e32 v6, v5
	v_cmp_gt_i64_e64 s[38:39], 0, v[6:7]
	v_not_b32_e32 v6, v7
	v_ashrrev_i32_e32 v6, 31, v6
	v_and_b32_e32 v4, exec_hi, v4
	v_xor_b32_e32 v7, s39, v6
	v_xor_b32_e32 v6, s38, v6
	v_and_b32_e32 v4, v4, v7
	v_and_b32_e32 v78, v78, v6
	v_lshlrev_b32_e32 v7, 29, v38
	v_mov_b32_e32 v6, v5
	v_cmp_gt_i64_e64 s[38:39], 0, v[6:7]
	v_not_b32_e32 v6, v7
	v_ashrrev_i32_e32 v6, 31, v6
	v_xor_b32_e32 v7, s39, v6
	v_xor_b32_e32 v6, s38, v6
	v_and_b32_e32 v4, v4, v7
	v_and_b32_e32 v78, v78, v6
	v_lshlrev_b32_e32 v7, 28, v38
	v_mov_b32_e32 v6, v5
	v_cmp_gt_i64_e64 s[38:39], 0, v[6:7]
	v_not_b32_e32 v6, v7
	v_ashrrev_i32_e32 v6, 31, v6
	;; [unrolled: 9-line block ×5, first 2 shown]
	v_xor_b32_e32 v7, s39, v6
	v_xor_b32_e32 v6, s38, v6
	v_and_b32_e32 v4, v4, v7
	v_lshlrev_b32_e32 v7, 24, v38
	v_and_b32_e32 v78, v78, v6
	v_mov_b32_e32 v6, v5
	v_not_b32_e32 v5, v7
	v_cmp_gt_i64_e64 s[38:39], 0, v[6:7]
	v_ashrrev_i32_e32 v5, 31, v5
	v_add_u32_e32 v38, v36, v79
	v_xor_b32_e32 v6, s39, v5
	v_xor_b32_e32 v7, s38, v5
	v_and_b32_e32 v5, v4, v6
	v_and_b32_e32 v4, v78, v7
	v_mbcnt_lo_u32_b32 v6, v4, 0
	v_mbcnt_hi_u32_b32 v78, v5, v6
	v_cmp_eq_u32_e64 s[38:39], 0, v78
	v_cmp_ne_u64_e64 s[40:41], 0, v[4:5]
	s_and_b64 s[40:41], s[40:41], s[38:39]
	; wave barrier
	s_and_saveexec_b64 s[38:39], s[40:41]
	s_cbranch_execz .LBB25_69
; %bb.68:
	v_bcnt_u32_b32 v4, v4, 0
	v_bcnt_u32_b32 v4, v5, v4
	s_waitcnt lgkmcnt(0)
	v_add_u32_e32 v4, v77, v4
	ds_write_b32 v38, v4 offset:16
.LBB25_69:
	s_or_b64 exec, exec, s[38:39]
	v_lshrrev_b32_e32 v4, s88, v35
	v_and_b32_e32 v35, s96, v4
	v_mad_u32_u24 v4, v35, 20, v36
	; wave barrier
	ds_read_b32 v79, v4 offset:16
	v_and_b32_e32 v4, 1, v35
	v_mov_b32_e32 v5, 0
	v_lshl_add_u64 v[6:7], v[4:5], 0, -1
	v_cmp_ne_u32_e64 s[38:39], 0, v4
	v_mul_u32_u24_e32 v81, 20, v35
	s_nop 0
	v_xor_b32_e32 v6, s38, v6
	v_xor_b32_e32 v4, s39, v7
	v_and_b32_e32 v80, exec_lo, v6
	v_lshlrev_b32_e32 v7, 30, v35
	v_mov_b32_e32 v6, v5
	v_cmp_gt_i64_e64 s[38:39], 0, v[6:7]
	v_not_b32_e32 v6, v7
	v_ashrrev_i32_e32 v6, 31, v6
	v_and_b32_e32 v4, exec_hi, v4
	v_xor_b32_e32 v7, s39, v6
	v_xor_b32_e32 v6, s38, v6
	v_and_b32_e32 v4, v4, v7
	v_and_b32_e32 v80, v80, v6
	v_lshlrev_b32_e32 v7, 29, v35
	v_mov_b32_e32 v6, v5
	v_cmp_gt_i64_e64 s[38:39], 0, v[6:7]
	v_not_b32_e32 v6, v7
	v_ashrrev_i32_e32 v6, 31, v6
	v_xor_b32_e32 v7, s39, v6
	v_xor_b32_e32 v6, s38, v6
	v_and_b32_e32 v4, v4, v7
	v_and_b32_e32 v80, v80, v6
	v_lshlrev_b32_e32 v7, 28, v35
	v_mov_b32_e32 v6, v5
	v_cmp_gt_i64_e64 s[38:39], 0, v[6:7]
	v_not_b32_e32 v6, v7
	v_ashrrev_i32_e32 v6, 31, v6
	;; [unrolled: 9-line block ×6, first 2 shown]
	v_xor_b32_e32 v7, s39, v6
	v_xor_b32_e32 v6, s38, v6
	v_and_b32_e32 v6, v80, v6
	v_and_b32_e32 v7, v4, v7
	v_mbcnt_lo_u32_b32 v4, v6, 0
	v_mbcnt_hi_u32_b32 v80, v7, v4
	v_cmp_eq_u32_e64 s[38:39], 0, v80
	v_cmp_ne_u64_e64 s[40:41], 0, v[6:7]
	s_and_b64 s[40:41], s[40:41], s[38:39]
	v_add_u32_e32 v35, v36, v81
	; wave barrier
	s_and_saveexec_b64 s[38:39], s[40:41]
	s_cbranch_execz .LBB25_71
; %bb.70:
	v_bcnt_u32_b32 v4, v6, 0
	v_bcnt_u32_b32 v4, v7, v4
	s_waitcnt lgkmcnt(0)
	v_add_u32_e32 v4, v79, v4
	ds_write_b32 v35, v4 offset:16
.LBB25_71:
	s_or_b64 exec, exec, s[38:39]
	v_lshrrev_b32_e32 v4, s88, v31
	v_and_b32_e32 v31, s96, v4
	v_mad_u32_u24 v4, v31, 20, v36
	; wave barrier
	ds_read_b32 v81, v4 offset:16
	v_and_b32_e32 v4, 1, v31
	v_lshl_add_u64 v[6:7], v[4:5], 0, -1
	v_cmp_ne_u32_e64 s[38:39], 0, v4
	v_mul_u32_u24_e32 v83, 20, v31
	s_nop 0
	v_xor_b32_e32 v6, s38, v6
	v_xor_b32_e32 v4, s39, v7
	v_and_b32_e32 v82, exec_lo, v6
	v_lshlrev_b32_e32 v7, 30, v31
	v_mov_b32_e32 v6, v5
	v_cmp_gt_i64_e64 s[38:39], 0, v[6:7]
	v_not_b32_e32 v6, v7
	v_ashrrev_i32_e32 v6, 31, v6
	v_and_b32_e32 v4, exec_hi, v4
	v_xor_b32_e32 v7, s39, v6
	v_xor_b32_e32 v6, s38, v6
	v_and_b32_e32 v4, v4, v7
	v_and_b32_e32 v82, v82, v6
	v_lshlrev_b32_e32 v7, 29, v31
	v_mov_b32_e32 v6, v5
	v_cmp_gt_i64_e64 s[38:39], 0, v[6:7]
	v_not_b32_e32 v6, v7
	v_ashrrev_i32_e32 v6, 31, v6
	v_xor_b32_e32 v7, s39, v6
	v_xor_b32_e32 v6, s38, v6
	v_and_b32_e32 v4, v4, v7
	v_and_b32_e32 v82, v82, v6
	v_lshlrev_b32_e32 v7, 28, v31
	v_mov_b32_e32 v6, v5
	v_cmp_gt_i64_e64 s[38:39], 0, v[6:7]
	v_not_b32_e32 v6, v7
	v_ashrrev_i32_e32 v6, 31, v6
	;; [unrolled: 9-line block ×5, first 2 shown]
	v_xor_b32_e32 v7, s39, v6
	v_xor_b32_e32 v6, s38, v6
	v_and_b32_e32 v4, v4, v7
	v_lshlrev_b32_e32 v7, 24, v31
	v_and_b32_e32 v82, v82, v6
	v_mov_b32_e32 v6, v5
	v_not_b32_e32 v5, v7
	v_cmp_gt_i64_e64 s[38:39], 0, v[6:7]
	v_ashrrev_i32_e32 v5, 31, v5
	v_add_u32_e32 v31, v36, v83
	v_xor_b32_e32 v6, s39, v5
	v_xor_b32_e32 v7, s38, v5
	v_and_b32_e32 v5, v4, v6
	v_and_b32_e32 v4, v82, v7
	v_mbcnt_lo_u32_b32 v6, v4, 0
	v_mbcnt_hi_u32_b32 v82, v5, v6
	v_cmp_eq_u32_e64 s[38:39], 0, v82
	v_cmp_ne_u64_e64 s[40:41], 0, v[4:5]
	s_and_b64 s[40:41], s[40:41], s[38:39]
	; wave barrier
	s_and_saveexec_b64 s[38:39], s[40:41]
	s_cbranch_execz .LBB25_73
; %bb.72:
	v_bcnt_u32_b32 v4, v4, 0
	v_bcnt_u32_b32 v4, v5, v4
	s_waitcnt lgkmcnt(0)
	v_add_u32_e32 v4, v81, v4
	ds_write_b32 v31, v4 offset:16
.LBB25_73:
	s_or_b64 exec, exec, s[38:39]
	; wave barrier
	s_waitcnt lgkmcnt(0)
	s_barrier
	ds_read2_b32 v[6:7], v28 offset0:4 offset1:5
	ds_read2_b32 v[4:5], v28 offset0:6 offset1:7
	ds_read_b32 v36, v28 offset:32
	v_min_u32_e32 v17, 0xc0, v17
	v_or_b32_e32 v17, 63, v17
	s_waitcnt lgkmcnt(1)
	v_add3_u32 v83, v7, v6, v4
	s_waitcnt lgkmcnt(0)
	v_add3_u32 v36, v83, v5, v36
	v_and_b32_e32 v83, 15, v3
	v_cmp_ne_u32_e64 s[38:39], 0, v83
	v_mov_b32_dpp v84, v36 row_shr:1 row_mask:0xf bank_mask:0xf
	s_nop 0
	v_cndmask_b32_e64 v84, 0, v84, s[38:39]
	v_add_u32_e32 v36, v84, v36
	v_cmp_lt_u32_e64 s[38:39], 1, v83
	s_nop 0
	v_mov_b32_dpp v84, v36 row_shr:2 row_mask:0xf bank_mask:0xf
	v_cndmask_b32_e64 v84, 0, v84, s[38:39]
	v_add_u32_e32 v36, v36, v84
	v_cmp_lt_u32_e64 s[38:39], 3, v83
	s_nop 0
	v_mov_b32_dpp v84, v36 row_shr:4 row_mask:0xf bank_mask:0xf
	;; [unrolled: 5-line block ×3, first 2 shown]
	v_cndmask_b32_e64 v83, 0, v84, s[38:39]
	v_add_u32_e32 v36, v36, v83
	v_bfe_i32 v84, v3, 4, 1
	v_cmp_lt_u32_e64 s[38:39], 31, v3
	v_mov_b32_dpp v83, v36 row_bcast:15 row_mask:0xf bank_mask:0xf
	v_and_b32_e32 v83, v84, v83
	v_add_u32_e32 v36, v36, v83
	s_nop 1
	v_mov_b32_dpp v83, v36 row_bcast:31 row_mask:0xf bank_mask:0xf
	v_cndmask_b32_e64 v83, 0, v83, s[38:39]
	v_add_u32_e32 v36, v36, v83
	v_lshrrev_b32_e32 v83, 6, v2
	v_cmp_eq_u32_e64 s[38:39], v2, v17
	s_and_saveexec_b64 s[40:41], s[38:39]
; %bb.74:
	v_lshlrev_b32_e32 v17, 2, v83
	ds_write_b32 v17, v36
; %bb.75:
	s_or_b64 exec, exec, s[40:41]
	v_cmp_gt_u32_e64 s[38:39], 4, v2
	s_waitcnt lgkmcnt(0)
	s_barrier
	s_and_saveexec_b64 s[40:41], s[38:39]
	s_cbranch_execz .LBB25_77
; %bb.76:
	v_lshlrev_b32_e32 v17, 2, v2
	ds_read_b32 v84, v17
	v_and_b32_e32 v85, 3, v3
	v_cmp_ne_u32_e64 s[38:39], 0, v85
	s_waitcnt lgkmcnt(0)
	v_mov_b32_dpp v86, v84 row_shr:1 row_mask:0xf bank_mask:0xf
	v_cndmask_b32_e64 v86, 0, v86, s[38:39]
	v_add_u32_e32 v84, v86, v84
	v_cmp_lt_u32_e64 s[38:39], 1, v85
	s_nop 0
	v_mov_b32_dpp v86, v84 row_shr:2 row_mask:0xf bank_mask:0xf
	v_cndmask_b32_e64 v85, 0, v86, s[38:39]
	v_add_u32_e32 v84, v84, v85
	ds_write_b32 v17, v84
.LBB25_77:
	s_or_b64 exec, exec, s[40:41]
	v_cmp_lt_u32_e64 s[38:39], 63, v2
	v_mov_b32_e32 v17, 0
	s_waitcnt lgkmcnt(0)
	s_barrier
	s_and_saveexec_b64 s[40:41], s[38:39]
; %bb.78:
	v_lshl_add_u32 v17, v83, 2, -4
	ds_read_b32 v17, v17
; %bb.79:
	s_or_b64 exec, exec, s[40:41]
	v_add_u32_e32 v83, -1, v3
	v_and_b32_e32 v84, 64, v3
	v_cmp_lt_i32_e64 s[38:39], v83, v84
	s_waitcnt lgkmcnt(0)
	v_add_u32_e32 v36, v17, v36
	v_cndmask_b32_e64 v83, v83, v3, s[38:39]
	v_lshlrev_b32_e32 v83, 2, v83
	ds_bpermute_b32 v36, v83, v36
	v_cmp_eq_u32_e64 s[38:39], 0, v3
	s_waitcnt lgkmcnt(0)
	s_nop 0
	v_cndmask_b32_e64 v17, v36, v17, s[38:39]
	v_cmp_ne_u32_e64 s[38:39], 0, v2
	s_nop 1
	v_cndmask_b32_e64 v17, 0, v17, s[38:39]
	v_add_u32_e32 v6, v17, v6
	v_add_u32_e32 v7, v6, v7
	;; [unrolled: 1-line block ×4, first 2 shown]
	ds_write2_b32 v28, v17, v6 offset0:4 offset1:5
	ds_write2_b32 v28, v7, v4 offset0:6 offset1:7
	ds_write_b32 v28, v5 offset:32
	s_waitcnt lgkmcnt(0)
	s_barrier
	ds_read_b32 v6, v32 offset:16
	ds_read_b32 v7, v37 offset:16
	;; [unrolled: 1-line block ×19, first 2 shown]
	v_add_u32_e32 v28, 1, v2
	s_movk_i32 s38, 0x100
	v_cmp_ne_u32_e64 s[38:39], s38, v28
	v_mov_b32_e32 v5, 0x1200
	s_and_saveexec_b64 s[40:41], s[38:39]
; %bb.80:
	v_mul_u32_u24_e32 v5, 20, v28
	ds_read_b32 v5, v5 offset:16
; %bb.81:
	s_or_b64 exec, exec, s[40:41]
	s_waitcnt lgkmcnt(14)
	v_add_u32_e32 v45, v6, v29
	v_add3_u32 v42, v33, v30, v7
	v_lshlrev_b32_e32 v6, 1, v45
	v_add3_u32 v41, v39, v34, v17
	s_waitcnt lgkmcnt(0)
	s_barrier
	ds_write_b16 v6, v9 offset:2048
	v_lshlrev_b32_e32 v6, 1, v42
	v_add3_u32 v40, v43, v40, v32
	ds_write_b16 v6, v8 offset:2048
	v_lshlrev_b32_e32 v6, 1, v41
	v_add3_u32 v39, v47, v44, v36
	;; [unrolled: 3-line block ×15, first 2 shown]
	ds_write_b16 v6, v24 offset:2048
	v_lshlrev_b32_e32 v6, 1, v17
	ds_write_b16 v6, v27 offset:2048
	v_lshlrev_b32_e32 v6, 1, v7
	ds_write_b16 v6, v26 offset:2048
	v_sub_u32_e32 v6, v5, v4
	v_lshl_add_u32 v8, s2, 8, v2
	v_mov_b32_e32 v9, 0
	v_lshl_add_u64 v[10:11], v[8:9], 2, s[94:95]
	v_or_b32_e32 v5, 2.0, v6
	s_mov_b64 s[40:41], 0
	s_brev_b32 s46, -4
	s_mov_b32 s47, s3
	v_mov_b32_e32 v15, 0
	s_waitcnt lgkmcnt(0)
	s_barrier
	global_store_dword v[10:11], v5, off sc1
                                        ; implicit-def: $sgpr38_sgpr39
	s_branch .LBB25_84
.LBB25_82:                              ;   in Loop: Header=BB25_84 Depth=1
	s_or_b64 exec, exec, s[44:45]
.LBB25_83:                              ;   in Loop: Header=BB25_84 Depth=1
	s_or_b64 exec, exec, s[42:43]
	v_and_b32_e32 v8, 0x3fffffff, v5
	v_add_u32_e32 v15, v8, v15
	v_cmp_gt_i32_e64 s[38:39], -2.0, v5
	s_and_b64 s[42:43], exec, s[38:39]
	s_or_b64 s[40:41], s[42:43], s[40:41]
	s_andn2_b64 exec, exec, s[40:41]
	s_cbranch_execz .LBB25_89
.LBB25_84:                              ; =>This Loop Header: Depth=1
                                        ;     Child Loop BB25_87 Depth 2
	s_or_b64 s[38:39], s[38:39], exec
	s_cmp_eq_u32 s47, 0
	s_cbranch_scc1 .LBB25_88
; %bb.85:                               ;   in Loop: Header=BB25_84 Depth=1
	s_add_i32 s47, s47, -1
	v_lshl_add_u32 v8, s47, 8, v2
	v_lshl_add_u64 v[12:13], v[8:9], 2, s[94:95]
	global_load_dword v5, v[12:13], off sc1
	s_waitcnt vmcnt(0)
	v_cmp_gt_u32_e64 s[38:39], 2.0, v5
	s_and_saveexec_b64 s[42:43], s[38:39]
	s_cbranch_execz .LBB25_83
; %bb.86:                               ;   in Loop: Header=BB25_84 Depth=1
	s_mov_b64 s[44:45], 0
.LBB25_87:                              ;   Parent Loop BB25_84 Depth=1
                                        ; =>  This Inner Loop Header: Depth=2
	global_load_dword v5, v[12:13], off sc1
	s_waitcnt vmcnt(0)
	v_cmp_lt_u32_e64 s[38:39], s46, v5
	s_or_b64 s[44:45], s[38:39], s[44:45]
	s_andn2_b64 exec, exec, s[44:45]
	s_cbranch_execnz .LBB25_87
	s_branch .LBB25_82
.LBB25_88:                              ;   in Loop: Header=BB25_84 Depth=1
                                        ; implicit-def: $sgpr47
	s_and_b64 s[42:43], exec, s[38:39]
	s_or_b64 s[40:41], s[42:43], s[40:41]
	s_andn2_b64 exec, exec, s[40:41]
	s_cbranch_execnz .LBB25_84
.LBB25_89:
	s_or_b64 exec, exec, s[40:41]
	v_add_u32_e32 v5, v15, v6
	v_or_b32_e32 v5, 0x80000000, v5
	v_lshlrev_b32_e32 v8, 3, v2
	global_store_dword v[10:11], v5, off sc1
	global_load_dwordx2 v[10:11], v8, s[84:85]
	v_sub_co_u32_e64 v12, s[38:39], v15, v4
	v_mov_b32_e32 v5, 0
	s_nop 0
	v_subb_co_u32_e64 v13, s[38:39], 0, 0, s[38:39]
	v_cmp_gt_u32_e64 s[38:39], s90, v2
	s_waitcnt vmcnt(0)
	v_lshl_add_u64 v[10:11], v[12:13], 0, v[10:11]
	ds_write_b64 v8, v[10:11]
	s_waitcnt lgkmcnt(0)
	s_barrier
	s_and_saveexec_b64 s[40:41], s[38:39]
	s_cbranch_execz .LBB25_91
; %bb.90:
	v_mad_i32_i24 v9, v2, -6, v8
	ds_read_u16 v9, v9 offset:2048
	v_lshlrev_b32_e32 v12, 1, v2
	v_mov_b32_e32 v13, v5
	s_waitcnt lgkmcnt(0)
	v_lshrrev_b32_sdwa v10, s88, v9 dst_sel:DWORD dst_unused:UNUSED_PAD src0_sel:DWORD src1_sel:WORD_0
	v_and_b32_e32 v10, s96, v10
	v_lshlrev_b32_e32 v10, 3, v10
	ds_read_b64 v[10:11], v10
	s_waitcnt lgkmcnt(0)
	v_lshl_add_u64 v[10:11], v[10:11], 1, s[78:79]
	v_lshl_add_u64 v[10:11], v[10:11], 0, v[12:13]
	global_store_short v[10:11], v9, off
.LBB25_91:
	s_or_b64 exec, exec, s[40:41]
	v_add_u32_e32 v9, 0x100, v2
	v_cmp_gt_u32_e64 s[40:41], s90, v9
	s_and_saveexec_b64 s[42:43], s[40:41]
	s_cbranch_execz .LBB25_93
; %bb.92:
	v_mad_i32_i24 v9, v2, -6, v8
	ds_read_u16 v9, v9 offset:2560
	v_lshlrev_b32_e32 v12, 1, v2
	v_mov_b32_e32 v13, 0
	s_waitcnt lgkmcnt(0)
	v_lshrrev_b32_sdwa v10, s88, v9 dst_sel:DWORD dst_unused:UNUSED_PAD src0_sel:DWORD src1_sel:WORD_0
	v_and_b32_e32 v10, s96, v10
	v_lshlrev_b32_e32 v10, 3, v10
	ds_read_b64 v[10:11], v10
	s_waitcnt lgkmcnt(0)
	v_lshl_add_u64 v[10:11], v[10:11], 1, s[78:79]
	v_lshl_add_u64 v[10:11], v[10:11], 0, v[12:13]
	global_store_short v[10:11], v9, off offset:512
.LBB25_93:
	s_or_b64 exec, exec, s[42:43]
	v_add_u32_e32 v12, 0x200, v2
	v_cmp_gt_u32_e64 s[42:43], s90, v12
	s_and_saveexec_b64 s[44:45], s[42:43]
	s_cbranch_execz .LBB25_95
; %bb.94:
	v_mad_i32_i24 v9, v2, -6, v8
	ds_read_u16 v9, v9 offset:3072
	v_lshlrev_b32_e32 v18, 1, v2
	v_mov_b32_e32 v19, 0
	s_waitcnt lgkmcnt(0)
	v_lshrrev_b32_sdwa v10, s88, v9 dst_sel:DWORD dst_unused:UNUSED_PAD src0_sel:DWORD src1_sel:WORD_0
	v_and_b32_e32 v10, s96, v10
	v_lshlrev_b32_e32 v10, 3, v10
	ds_read_b64 v[10:11], v10
	s_waitcnt lgkmcnt(0)
	v_lshl_add_u64 v[10:11], v[10:11], 1, s[78:79]
	v_lshl_add_u64 v[10:11], v[10:11], 0, v[18:19]
	global_store_short v[10:11], v9, off offset:1024
.LBB25_95:
	;; [unrolled: 20-line block ×3, first 2 shown]
	s_or_b64 exec, exec, s[46:47]
	v_or_b32_e32 v15, 0x400, v2
	v_cmp_gt_u32_e64 s[46:47], s90, v15
	s_and_saveexec_b64 s[48:49], s[46:47]
	s_cbranch_execz .LBB25_99
; %bb.98:
	v_mad_i32_i24 v9, v2, -6, v8
	ds_read_u16 v9, v9 offset:4096
	v_lshlrev_b32_e32 v18, 1, v2
	v_mov_b32_e32 v19, 0
	s_waitcnt lgkmcnt(0)
	v_lshrrev_b32_sdwa v10, s88, v9 dst_sel:DWORD dst_unused:UNUSED_PAD src0_sel:DWORD src1_sel:WORD_0
	v_and_b32_e32 v10, s96, v10
	v_lshlrev_b32_e32 v10, 3, v10
	ds_read_b64 v[10:11], v10
	s_waitcnt lgkmcnt(0)
	v_lshl_add_u64 v[10:11], v[10:11], 1, s[78:79]
	v_lshl_add_u64 v[10:11], v[10:11], 0, v[18:19]
	global_store_short v[10:11], v9, off offset:2048
.LBB25_99:
	s_or_b64 exec, exec, s[48:49]
	v_add_u32_e32 v16, 0x500, v2
	v_cmp_gt_u32_e64 s[48:49], s90, v16
	s_and_saveexec_b64 s[50:51], s[48:49]
	s_cbranch_execz .LBB25_101
; %bb.100:
	v_mad_i32_i24 v9, v2, -6, v8
	ds_read_u16 v9, v9 offset:4608
	v_lshlrev_b32_e32 v18, 1, v2
	v_mov_b32_e32 v19, 0
	s_waitcnt lgkmcnt(0)
	v_lshrrev_b32_sdwa v10, s88, v9 dst_sel:DWORD dst_unused:UNUSED_PAD src0_sel:DWORD src1_sel:WORD_0
	v_and_b32_e32 v10, s96, v10
	v_lshlrev_b32_e32 v10, 3, v10
	ds_read_b64 v[10:11], v10
	s_waitcnt lgkmcnt(0)
	v_lshl_add_u64 v[10:11], v[10:11], 1, s[78:79]
	v_lshl_add_u64 v[10:11], v[10:11], 0, v[18:19]
	global_store_short v[10:11], v9, off offset:2560
.LBB25_101:
	s_or_b64 exec, exec, s[50:51]
	v_add_u32_e32 v18, 0x600, v2
	;; [unrolled: 20-line block ×3, first 2 shown]
	v_cmp_gt_u32_e64 s[52:53], s90, v19
	s_and_saveexec_b64 s[54:55], s[52:53]
	s_cbranch_execz .LBB25_105
; %bb.104:
	v_lshlrev_b32_e32 v10, 1, v2
	ds_read_u16 v9, v10 offset:5632
	s_waitcnt lgkmcnt(0)
	v_lshrrev_b32_sdwa v11, s88, v9 dst_sel:DWORD dst_unused:UNUSED_PAD src0_sel:DWORD src1_sel:WORD_0
	v_and_b32_e32 v11, s96, v11
	v_lshlrev_b32_e32 v11, 3, v11
	ds_read_b64 v[20:21], v11
	v_mov_b32_e32 v11, 0
	s_waitcnt lgkmcnt(0)
	v_lshl_add_u64 v[20:21], v[20:21], 1, s[78:79]
	v_lshl_add_u64 v[10:11], v[20:21], 0, v[10:11]
	global_store_short v[10:11], v9, off offset:3584
.LBB25_105:
	s_or_b64 exec, exec, s[54:55]
	v_or_b32_e32 v20, 0x800, v2
	v_cmp_gt_u32_e64 s[54:55], s90, v20
	s_and_saveexec_b64 s[56:57], s[54:55]
	s_cbranch_execz .LBB25_107
; %bb.106:
	v_lshlrev_b32_e32 v9, 1, v2
	ds_read_u16 v9, v9 offset:6144
	v_lshlrev_b32_e32 v22, 1, v20
	v_mov_b32_e32 v23, 0
	s_waitcnt lgkmcnt(0)
	v_lshrrev_b32_sdwa v10, s88, v9 dst_sel:DWORD dst_unused:UNUSED_PAD src0_sel:DWORD src1_sel:WORD_0
	v_and_b32_e32 v10, s96, v10
	v_lshlrev_b32_e32 v10, 3, v10
	ds_read_b64 v[10:11], v10
	s_waitcnt lgkmcnt(0)
	v_lshl_add_u64 v[10:11], v[10:11], 1, s[78:79]
	v_lshl_add_u64 v[10:11], v[10:11], 0, v[22:23]
	global_store_short v[10:11], v9, off
.LBB25_107:
	s_or_b64 exec, exec, s[56:57]
	v_add_u32_e32 v21, 0x900, v2
	v_cmp_gt_u32_e64 s[56:57], s90, v21
	s_and_saveexec_b64 s[58:59], s[56:57]
	s_cbranch_execz .LBB25_109
; %bb.108:
	v_lshlrev_b32_e32 v9, 1, v2
	ds_read_u16 v9, v9 offset:6656
	v_lshlrev_b32_e32 v22, 1, v21
	v_mov_b32_e32 v23, 0
	s_waitcnt lgkmcnt(0)
	v_lshrrev_b32_sdwa v10, s88, v9 dst_sel:DWORD dst_unused:UNUSED_PAD src0_sel:DWORD src1_sel:WORD_0
	v_and_b32_e32 v10, s96, v10
	v_lshlrev_b32_e32 v10, 3, v10
	ds_read_b64 v[10:11], v10
	s_waitcnt lgkmcnt(0)
	v_lshl_add_u64 v[10:11], v[10:11], 1, s[78:79]
	v_lshl_add_u64 v[10:11], v[10:11], 0, v[22:23]
	global_store_short v[10:11], v9, off
.LBB25_109:
	s_or_b64 exec, exec, s[58:59]
	v_add_u32_e32 v22, 0xa00, v2
	v_cmp_gt_u32_e64 s[58:59], s90, v22
	s_and_saveexec_b64 s[60:61], s[58:59]
	s_cbranch_execz .LBB25_111
; %bb.110:
	v_lshlrev_b32_e32 v9, 1, v2
	ds_read_u16 v9, v9 offset:7168
	v_lshlrev_b32_e32 v24, 1, v22
	v_mov_b32_e32 v25, 0
	s_waitcnt lgkmcnt(0)
	v_lshrrev_b32_sdwa v10, s88, v9 dst_sel:DWORD dst_unused:UNUSED_PAD src0_sel:DWORD src1_sel:WORD_0
	v_and_b32_e32 v10, s96, v10
	v_lshlrev_b32_e32 v10, 3, v10
	ds_read_b64 v[10:11], v10
	s_waitcnt lgkmcnt(0)
	v_lshl_add_u64 v[10:11], v[10:11], 1, s[78:79]
	v_lshl_add_u64 v[10:11], v[10:11], 0, v[24:25]
	global_store_short v[10:11], v9, off
.LBB25_111:
	s_or_b64 exec, exec, s[60:61]
	v_add_u32_e32 v23, 0xb00, v2
	v_cmp_gt_u32_e64 s[60:61], s90, v23
	s_and_saveexec_b64 s[62:63], s[60:61]
	s_cbranch_execz .LBB25_113
; %bb.112:
	v_lshlrev_b32_e32 v9, 1, v2
	ds_read_u16 v9, v9 offset:7680
	v_lshlrev_b32_e32 v24, 1, v23
	v_mov_b32_e32 v25, 0
	s_waitcnt lgkmcnt(0)
	v_lshrrev_b32_sdwa v10, s88, v9 dst_sel:DWORD dst_unused:UNUSED_PAD src0_sel:DWORD src1_sel:WORD_0
	v_and_b32_e32 v10, s96, v10
	v_lshlrev_b32_e32 v10, 3, v10
	ds_read_b64 v[10:11], v10
	s_waitcnt lgkmcnt(0)
	v_lshl_add_u64 v[10:11], v[10:11], 1, s[78:79]
	v_lshl_add_u64 v[10:11], v[10:11], 0, v[24:25]
	global_store_short v[10:11], v9, off
.LBB25_113:
	s_or_b64 exec, exec, s[62:63]
	v_or_b32_e32 v24, 0xc00, v2
	v_cmp_gt_u32_e64 s[62:63], s90, v24
	s_and_saveexec_b64 s[64:65], s[62:63]
	s_cbranch_execz .LBB25_115
; %bb.114:
	v_lshlrev_b32_e32 v9, 1, v2
	ds_read_u16 v9, v9 offset:8192
	v_lshlrev_b32_e32 v26, 1, v24
	v_mov_b32_e32 v27, 0
	s_waitcnt lgkmcnt(0)
	v_lshrrev_b32_sdwa v10, s88, v9 dst_sel:DWORD dst_unused:UNUSED_PAD src0_sel:DWORD src1_sel:WORD_0
	v_and_b32_e32 v10, s96, v10
	v_lshlrev_b32_e32 v10, 3, v10
	ds_read_b64 v[10:11], v10
	s_waitcnt lgkmcnt(0)
	v_lshl_add_u64 v[10:11], v[10:11], 1, s[78:79]
	v_lshl_add_u64 v[10:11], v[10:11], 0, v[26:27]
	global_store_short v[10:11], v9, off
.LBB25_115:
	s_or_b64 exec, exec, s[64:65]
	v_add_u32_e32 v25, 0xd00, v2
	v_cmp_gt_u32_e64 s[64:65], s90, v25
	s_and_saveexec_b64 s[66:67], s[64:65]
	s_cbranch_execz .LBB25_117
; %bb.116:
	v_lshlrev_b32_e32 v9, 1, v2
	ds_read_u16 v9, v9 offset:8704
	v_lshlrev_b32_e32 v26, 1, v25
	v_mov_b32_e32 v27, 0
	s_waitcnt lgkmcnt(0)
	v_lshrrev_b32_sdwa v10, s88, v9 dst_sel:DWORD dst_unused:UNUSED_PAD src0_sel:DWORD src1_sel:WORD_0
	v_and_b32_e32 v10, s96, v10
	v_lshlrev_b32_e32 v10, 3, v10
	ds_read_b64 v[10:11], v10
	s_waitcnt lgkmcnt(0)
	v_lshl_add_u64 v[10:11], v[10:11], 1, s[78:79]
	v_lshl_add_u64 v[10:11], v[10:11], 0, v[26:27]
	global_store_short v[10:11], v9, off
.LBB25_117:
	s_or_b64 exec, exec, s[66:67]
	v_add_u32_e32 v26, 0xe00, v2
	v_cmp_gt_u32_e64 s[66:67], s90, v26
	s_and_saveexec_b64 s[68:69], s[66:67]
	s_cbranch_execz .LBB25_119
; %bb.118:
	v_lshlrev_b32_e32 v9, 1, v2
	ds_read_u16 v9, v9 offset:9216
	v_lshlrev_b32_e32 v46, 1, v26
	v_mov_b32_e32 v47, 0
	s_waitcnt lgkmcnt(0)
	v_lshrrev_b32_sdwa v10, s88, v9 dst_sel:DWORD dst_unused:UNUSED_PAD src0_sel:DWORD src1_sel:WORD_0
	v_and_b32_e32 v10, s96, v10
	v_lshlrev_b32_e32 v10, 3, v10
	ds_read_b64 v[10:11], v10
	s_waitcnt lgkmcnt(0)
	v_lshl_add_u64 v[10:11], v[10:11], 1, s[78:79]
	v_lshl_add_u64 v[10:11], v[10:11], 0, v[46:47]
	global_store_short v[10:11], v9, off
.LBB25_119:
	s_or_b64 exec, exec, s[68:69]
	v_add_u32_e32 v27, 0xf00, v2
	v_cmp_gt_u32_e64 s[68:69], s90, v27
	s_and_saveexec_b64 s[70:71], s[68:69]
	s_cbranch_execz .LBB25_121
; %bb.120:
	v_lshlrev_b32_e32 v9, 1, v2
	ds_read_u16 v9, v9 offset:9728
	v_lshlrev_b32_e32 v46, 1, v27
	v_mov_b32_e32 v47, 0
	s_waitcnt lgkmcnt(0)
	v_lshrrev_b32_sdwa v10, s88, v9 dst_sel:DWORD dst_unused:UNUSED_PAD src0_sel:DWORD src1_sel:WORD_0
	v_and_b32_e32 v10, s96, v10
	v_lshlrev_b32_e32 v10, 3, v10
	ds_read_b64 v[10:11], v10
	s_waitcnt lgkmcnt(0)
	v_lshl_add_u64 v[10:11], v[10:11], 1, s[78:79]
	v_lshl_add_u64 v[10:11], v[10:11], 0, v[46:47]
	global_store_short v[10:11], v9, off
.LBB25_121:
	s_or_b64 exec, exec, s[70:71]
	v_or_b32_e32 v43, 0x1000, v2
	v_cmp_gt_u32_e64 s[70:71], s90, v43
	s_and_saveexec_b64 s[72:73], s[70:71]
	s_cbranch_execz .LBB25_123
; %bb.122:
	v_lshlrev_b32_e32 v9, 1, v2
	ds_read_u16 v9, v9 offset:10240
	v_lshlrev_b32_e32 v46, 1, v43
	v_mov_b32_e32 v47, 0
	s_waitcnt lgkmcnt(0)
	v_lshrrev_b32_sdwa v10, s88, v9 dst_sel:DWORD dst_unused:UNUSED_PAD src0_sel:DWORD src1_sel:WORD_0
	v_and_b32_e32 v10, s96, v10
	v_lshlrev_b32_e32 v10, 3, v10
	ds_read_b64 v[10:11], v10
	s_waitcnt lgkmcnt(0)
	v_lshl_add_u64 v[10:11], v[10:11], 1, s[78:79]
	v_lshl_add_u64 v[10:11], v[10:11], 0, v[46:47]
	global_store_short v[10:11], v9, off
.LBB25_123:
	s_or_b64 exec, exec, s[72:73]
	v_add_u32_e32 v44, 0x1100, v2
	v_cmp_gt_u32_e64 s[72:73], s90, v44
	s_and_saveexec_b64 s[90:91], s[72:73]
	s_cbranch_execz .LBB25_125
; %bb.124:
	v_lshlrev_b32_e32 v9, 1, v2
	ds_read_u16 v9, v9 offset:10752
	v_lshlrev_b32_e32 v46, 1, v44
	v_mov_b32_e32 v47, 0
	s_waitcnt lgkmcnt(0)
	v_lshrrev_b32_sdwa v10, s88, v9 dst_sel:DWORD dst_unused:UNUSED_PAD src0_sel:DWORD src1_sel:WORD_0
	v_and_b32_e32 v10, s96, v10
	v_lshlrev_b32_e32 v10, 3, v10
	ds_read_b64 v[10:11], v10
	s_waitcnt lgkmcnt(0)
	v_lshl_add_u64 v[10:11], v[10:11], 1, s[78:79]
	v_lshl_add_u64 v[10:11], v[10:11], 0, v[46:47]
	global_store_short v[10:11], v9, off
.LBB25_125:
	s_or_b64 exec, exec, s[90:91]
	s_lshl_b64 s[90:91], s[92:93], 3
	s_add_u32 s90, s80, s90
	s_addc_u32 s91, s81, s91
	v_lshlrev_b32_e32 v10, 3, v3
	v_mov_b32_e32 v11, 0
	v_lshl_add_u64 v[46:47], s[90:91], 0, v[10:11]
	v_lshlrev_b32_e32 v10, 3, v14
	v_lshl_add_u64 v[10:11], v[46:47], 0, v[10:11]
                                        ; implicit-def: $vgpr60_vgpr61
	s_and_saveexec_b64 s[90:91], vcc
	s_xor_b64 s[90:91], exec, s[90:91]
	s_cbranch_execz .LBB25_143
; %bb.126:
	global_load_dwordx2 v[60:61], v[10:11], off
	s_or_b64 exec, exec, s[90:91]
                                        ; implicit-def: $vgpr62_vgpr63
	s_and_saveexec_b64 s[90:91], s[74:75]
	s_cbranch_execnz .LBB25_144
.LBB25_127:
	s_or_b64 exec, exec, s[90:91]
                                        ; implicit-def: $vgpr64_vgpr65
	s_and_saveexec_b64 s[74:75], s[4:5]
	s_cbranch_execz .LBB25_145
.LBB25_128:
	global_load_dwordx2 v[64:65], v[10:11], off offset:1024
	s_or_b64 exec, exec, s[74:75]
                                        ; implicit-def: $vgpr66_vgpr67
	s_and_saveexec_b64 s[4:5], s[6:7]
	s_cbranch_execnz .LBB25_146
.LBB25_129:
	s_or_b64 exec, exec, s[4:5]
                                        ; implicit-def: $vgpr68_vgpr69
	s_and_saveexec_b64 s[4:5], s[8:9]
	s_cbranch_execz .LBB25_147
.LBB25_130:
	global_load_dwordx2 v[68:69], v[10:11], off offset:2048
	s_or_b64 exec, exec, s[4:5]
                                        ; implicit-def: $vgpr70_vgpr71
	s_and_saveexec_b64 s[4:5], s[10:11]
	s_cbranch_execnz .LBB25_148
.LBB25_131:
	s_or_b64 exec, exec, s[4:5]
                                        ; implicit-def: $vgpr72_vgpr73
	s_and_saveexec_b64 s[4:5], s[12:13]
	s_cbranch_execz .LBB25_149
.LBB25_132:
	global_load_dwordx2 v[72:73], v[10:11], off offset:3072
	s_or_b64 exec, exec, s[4:5]
                                        ; implicit-def: $vgpr74_vgpr75
	s_and_saveexec_b64 s[4:5], s[14:15]
	s_cbranch_execnz .LBB25_150
.LBB25_133:
	s_or_b64 exec, exec, s[4:5]
                                        ; implicit-def: $vgpr76_vgpr77
	s_and_saveexec_b64 s[4:5], s[16:17]
	s_cbranch_execz .LBB25_151
.LBB25_134:
	v_add_co_u32_e32 v46, vcc, 0x1000, v10
	s_nop 1
	v_addc_co_u32_e32 v47, vcc, 0, v11, vcc
	global_load_dwordx2 v[76:77], v[46:47], off
	s_or_b64 exec, exec, s[4:5]
                                        ; implicit-def: $vgpr78_vgpr79
	s_and_saveexec_b64 s[4:5], s[18:19]
	s_cbranch_execnz .LBB25_152
.LBB25_135:
	s_or_b64 exec, exec, s[4:5]
                                        ; implicit-def: $vgpr80_vgpr81
	s_and_saveexec_b64 s[4:5], s[20:21]
	s_cbranch_execz .LBB25_153
.LBB25_136:
	v_add_co_u32_e32 v46, vcc, 0x1000, v10
	s_nop 1
	v_addc_co_u32_e32 v47, vcc, 0, v11, vcc
	global_load_dwordx2 v[80:81], v[46:47], off offset:1024
	s_or_b64 exec, exec, s[4:5]
                                        ; implicit-def: $vgpr82_vgpr83
	s_and_saveexec_b64 s[4:5], s[22:23]
	s_cbranch_execnz .LBB25_154
.LBB25_137:
	s_or_b64 exec, exec, s[4:5]
                                        ; implicit-def: $vgpr84_vgpr85
	s_and_saveexec_b64 s[4:5], s[24:25]
	s_cbranch_execz .LBB25_155
.LBB25_138:
	v_add_co_u32_e32 v46, vcc, 0x1000, v10
	s_nop 1
	v_addc_co_u32_e32 v47, vcc, 0, v11, vcc
	global_load_dwordx2 v[84:85], v[46:47], off offset:2048
	s_or_b64 exec, exec, s[4:5]
                                        ; implicit-def: $vgpr86_vgpr87
	s_and_saveexec_b64 s[4:5], s[26:27]
	s_cbranch_execnz .LBB25_156
.LBB25_139:
	s_or_b64 exec, exec, s[4:5]
                                        ; implicit-def: $vgpr88_vgpr89
	s_and_saveexec_b64 s[4:5], s[28:29]
	s_cbranch_execz .LBB25_157
.LBB25_140:
	v_add_co_u32_e32 v46, vcc, 0x1000, v10
	s_nop 1
	v_addc_co_u32_e32 v47, vcc, 0, v11, vcc
	global_load_dwordx2 v[88:89], v[46:47], off offset:3072
	s_or_b64 exec, exec, s[4:5]
                                        ; implicit-def: $vgpr90_vgpr91
	s_and_saveexec_b64 s[4:5], s[30:31]
	s_cbranch_execnz .LBB25_158
.LBB25_141:
	s_or_b64 exec, exec, s[4:5]
                                        ; implicit-def: $vgpr92_vgpr93
	s_and_saveexec_b64 s[4:5], s[34:35]
	s_cbranch_execz .LBB25_159
.LBB25_142:
	v_add_co_u32_e32 v46, vcc, 0x2000, v10
	s_nop 1
	v_addc_co_u32_e32 v47, vcc, 0, v11, vcc
	global_load_dwordx2 v[92:93], v[46:47], off
	s_or_b64 exec, exec, s[4:5]
                                        ; implicit-def: $vgpr94_vgpr95
	s_and_saveexec_b64 s[4:5], s[36:37]
	s_cbranch_execnz .LBB25_160
	s_branch .LBB25_161
.LBB25_143:
	s_or_b64 exec, exec, s[90:91]
                                        ; implicit-def: $vgpr62_vgpr63
	s_and_saveexec_b64 s[90:91], s[74:75]
	s_cbranch_execz .LBB25_127
.LBB25_144:
	global_load_dwordx2 v[62:63], v[10:11], off offset:512
	s_or_b64 exec, exec, s[90:91]
                                        ; implicit-def: $vgpr64_vgpr65
	s_and_saveexec_b64 s[74:75], s[4:5]
	s_cbranch_execnz .LBB25_128
.LBB25_145:
	s_or_b64 exec, exec, s[74:75]
                                        ; implicit-def: $vgpr66_vgpr67
	s_and_saveexec_b64 s[4:5], s[6:7]
	s_cbranch_execz .LBB25_129
.LBB25_146:
	global_load_dwordx2 v[66:67], v[10:11], off offset:1536
	s_or_b64 exec, exec, s[4:5]
                                        ; implicit-def: $vgpr68_vgpr69
	s_and_saveexec_b64 s[4:5], s[8:9]
	s_cbranch_execnz .LBB25_130
.LBB25_147:
	s_or_b64 exec, exec, s[4:5]
                                        ; implicit-def: $vgpr70_vgpr71
	s_and_saveexec_b64 s[4:5], s[10:11]
	s_cbranch_execz .LBB25_131
.LBB25_148:
	global_load_dwordx2 v[70:71], v[10:11], off offset:2560
	s_or_b64 exec, exec, s[4:5]
                                        ; implicit-def: $vgpr72_vgpr73
	s_and_saveexec_b64 s[4:5], s[12:13]
	s_cbranch_execnz .LBB25_132
.LBB25_149:
	s_or_b64 exec, exec, s[4:5]
                                        ; implicit-def: $vgpr74_vgpr75
	s_and_saveexec_b64 s[4:5], s[14:15]
	s_cbranch_execz .LBB25_133
.LBB25_150:
	global_load_dwordx2 v[74:75], v[10:11], off offset:3584
	s_or_b64 exec, exec, s[4:5]
                                        ; implicit-def: $vgpr76_vgpr77
	s_and_saveexec_b64 s[4:5], s[16:17]
	s_cbranch_execnz .LBB25_134
.LBB25_151:
	s_or_b64 exec, exec, s[4:5]
                                        ; implicit-def: $vgpr78_vgpr79
	s_and_saveexec_b64 s[4:5], s[18:19]
	s_cbranch_execz .LBB25_135
.LBB25_152:
	v_add_co_u32_e32 v46, vcc, 0x1000, v10
	s_nop 1
	v_addc_co_u32_e32 v47, vcc, 0, v11, vcc
	global_load_dwordx2 v[78:79], v[46:47], off offset:512
	s_or_b64 exec, exec, s[4:5]
                                        ; implicit-def: $vgpr80_vgpr81
	s_and_saveexec_b64 s[4:5], s[20:21]
	s_cbranch_execnz .LBB25_136
.LBB25_153:
	s_or_b64 exec, exec, s[4:5]
                                        ; implicit-def: $vgpr82_vgpr83
	s_and_saveexec_b64 s[4:5], s[22:23]
	s_cbranch_execz .LBB25_137
.LBB25_154:
	v_add_co_u32_e32 v46, vcc, 0x1000, v10
	s_nop 1
	v_addc_co_u32_e32 v47, vcc, 0, v11, vcc
	global_load_dwordx2 v[82:83], v[46:47], off offset:1536
	s_or_b64 exec, exec, s[4:5]
                                        ; implicit-def: $vgpr84_vgpr85
	s_and_saveexec_b64 s[4:5], s[24:25]
	s_cbranch_execnz .LBB25_138
.LBB25_155:
	s_or_b64 exec, exec, s[4:5]
                                        ; implicit-def: $vgpr86_vgpr87
	s_and_saveexec_b64 s[4:5], s[26:27]
	s_cbranch_execz .LBB25_139
.LBB25_156:
	v_add_co_u32_e32 v46, vcc, 0x1000, v10
	s_nop 1
	v_addc_co_u32_e32 v47, vcc, 0, v11, vcc
	global_load_dwordx2 v[86:87], v[46:47], off offset:2560
	s_or_b64 exec, exec, s[4:5]
                                        ; implicit-def: $vgpr88_vgpr89
	s_and_saveexec_b64 s[4:5], s[28:29]
	s_cbranch_execnz .LBB25_140
.LBB25_157:
	s_or_b64 exec, exec, s[4:5]
                                        ; implicit-def: $vgpr90_vgpr91
	s_and_saveexec_b64 s[4:5], s[30:31]
	s_cbranch_execz .LBB25_141
.LBB25_158:
	v_add_co_u32_e32 v46, vcc, 0x1000, v10
	s_nop 1
	v_addc_co_u32_e32 v47, vcc, 0, v11, vcc
	global_load_dwordx2 v[90:91], v[46:47], off offset:3584
	s_or_b64 exec, exec, s[4:5]
                                        ; implicit-def: $vgpr92_vgpr93
	s_and_saveexec_b64 s[4:5], s[34:35]
	s_cbranch_execnz .LBB25_142
.LBB25_159:
	s_or_b64 exec, exec, s[4:5]
                                        ; implicit-def: $vgpr94_vgpr95
	s_and_saveexec_b64 s[4:5], s[36:37]
	s_cbranch_execz .LBB25_161
.LBB25_160:
	v_add_co_u32_e32 v10, vcc, 0x2000, v10
	s_nop 1
	v_addc_co_u32_e32 v11, vcc, 0, v11, vcc
	global_load_dwordx2 v[94:95], v[10:11], off offset:512
.LBB25_161:
	s_or_b64 exec, exec, s[4:5]
	v_mov_b32_e32 v56, 0
	v_mov_b32_e32 v9, 0
	s_and_saveexec_b64 s[4:5], s[38:39]
	s_cbranch_execz .LBB25_163
; %bb.162:
	v_lshlrev_b32_e32 v3, 1, v2
	ds_read_u16 v3, v3 offset:2048
	s_waitcnt lgkmcnt(0)
	v_lshrrev_b32_e32 v3, s88, v3
	v_and_b32_e32 v9, s96, v3
.LBB25_163:
	s_or_b64 exec, exec, s[4:5]
	s_and_saveexec_b64 s[4:5], s[40:41]
	s_cbranch_execz .LBB25_165
; %bb.164:
	v_lshlrev_b32_e32 v3, 1, v2
	ds_read_u16 v3, v3 offset:2560
	s_waitcnt lgkmcnt(0)
	v_lshrrev_b32_e32 v3, s88, v3
	v_and_b32_e32 v56, s96, v3
.LBB25_165:
	s_or_b64 exec, exec, s[4:5]
	v_mov_b32_e32 v54, 0
	v_mov_b32_e32 v58, 0
	s_and_saveexec_b64 s[4:5], s[42:43]
	s_cbranch_execz .LBB25_167
; %bb.166:
	v_lshlrev_b32_e32 v3, 1, v2
	ds_read_u16 v3, v3 offset:3072
	s_waitcnt lgkmcnt(0)
	v_lshrrev_b32_e32 v3, s88, v3
	v_and_b32_e32 v58, s96, v3
.LBB25_167:
	s_or_b64 exec, exec, s[4:5]
	s_and_saveexec_b64 s[4:5], s[44:45]
	s_cbranch_execz .LBB25_169
; %bb.168:
	v_lshlrev_b32_e32 v3, 1, v2
	ds_read_u16 v3, v3 offset:3584
	s_waitcnt lgkmcnt(0)
	v_lshrrev_b32_e32 v3, s88, v3
	v_and_b32_e32 v54, s96, v3
.LBB25_169:
	;; [unrolled: 22-line block ×9, first 2 shown]
	s_or_b64 exec, exec, s[4:5]
	v_lshlrev_b32_e32 v2, 3, v45
	s_barrier
	s_waitcnt vmcnt(0)
	ds_write_b64 v2, v[60:61] offset:2048
	v_lshlrev_b32_e32 v2, 3, v42
	ds_write_b64 v2, v[62:63] offset:2048
	v_lshlrev_b32_e32 v2, 3, v41
	;; [unrolled: 2-line block ×17, first 2 shown]
	ds_write_b64 v2, v[94:95] offset:2048
	s_waitcnt lgkmcnt(0)
	s_barrier
	s_and_saveexec_b64 s[4:5], s[38:39]
	s_cbranch_execz .LBB25_274
; %bb.198:
	v_lshlrev_b32_e32 v2, 3, v9
	ds_read_b64 v[28:29], v2
	ds_read_b64 v[30:31], v8 offset:2048
	v_mov_b32_e32 v9, 0
	s_waitcnt lgkmcnt(1)
	v_lshl_add_u64 v[28:29], v[28:29], 3, s[82:83]
	v_lshl_add_u64 v[28:29], v[28:29], 0, v[8:9]
	s_waitcnt lgkmcnt(0)
	global_store_dwordx2 v[28:29], v[30:31], off
	s_or_b64 exec, exec, s[4:5]
	s_and_saveexec_b64 s[4:5], s[40:41]
	s_cbranch_execnz .LBB25_275
.LBB25_199:
	s_or_b64 exec, exec, s[4:5]
	s_and_saveexec_b64 s[4:5], s[42:43]
	s_cbranch_execz .LBB25_276
.LBB25_200:
	v_lshlrev_b32_e32 v2, 3, v58
	ds_read_b64 v[28:29], v2
	ds_read_b64 v[30:31], v8 offset:6144
	v_lshlrev_b32_e32 v32, 3, v12
	v_mov_b32_e32 v33, 0
	s_waitcnt lgkmcnt(1)
	v_lshl_add_u64 v[28:29], v[28:29], 3, s[82:83]
	v_lshl_add_u64 v[28:29], v[28:29], 0, v[32:33]
	s_waitcnt lgkmcnt(0)
	global_store_dwordx2 v[28:29], v[30:31], off
	s_or_b64 exec, exec, s[4:5]
	s_and_saveexec_b64 s[4:5], s[44:45]
	s_cbranch_execnz .LBB25_277
.LBB25_201:
	s_or_b64 exec, exec, s[4:5]
	s_and_saveexec_b64 s[4:5], s[46:47]
	s_cbranch_execz .LBB25_278
.LBB25_202:
	v_lshlrev_b32_e32 v2, 3, v57
	ds_read_b64 v[12:13], v2
	ds_read_b64 v[28:29], v8 offset:10240
	v_lshlrev_b32_e32 v30, 3, v15
	v_mov_b32_e32 v31, 0
	s_waitcnt lgkmcnt(1)
	v_lshl_add_u64 v[12:13], v[12:13], 3, s[82:83]
	v_lshl_add_u64 v[12:13], v[12:13], 0, v[30:31]
	s_waitcnt lgkmcnt(0)
	global_store_dwordx2 v[12:13], v[28:29], off
	s_or_b64 exec, exec, s[4:5]
	s_and_saveexec_b64 s[4:5], s[48:49]
	s_cbranch_execnz .LBB25_279
.LBB25_203:
	s_or_b64 exec, exec, s[4:5]
	s_and_saveexec_b64 s[4:5], s[50:51]
	s_cbranch_execz .LBB25_280
.LBB25_204:
	v_lshlrev_b32_e32 v2, 3, v55
	ds_read_b64 v[12:13], v2
	ds_read_b64 v[16:17], v8 offset:14336
	v_lshlrev_b32_e32 v28, 3, v18
	v_mov_b32_e32 v29, 0
	s_waitcnt lgkmcnt(1)
	v_lshl_add_u64 v[12:13], v[12:13], 3, s[82:83]
	v_lshl_add_u64 v[12:13], v[12:13], 0, v[28:29]
	s_waitcnt lgkmcnt(0)
	global_store_dwordx2 v[12:13], v[16:17], off
	s_or_b64 exec, exec, s[4:5]
	s_and_saveexec_b64 s[4:5], s[52:53]
	s_cbranch_execnz .LBB25_281
.LBB25_205:
	s_or_b64 exec, exec, s[4:5]
	s_and_saveexec_b64 s[4:5], s[54:55]
	s_cbranch_execz .LBB25_282
.LBB25_206:
	v_lshlrev_b32_e32 v2, 3, v53
	ds_read_b64 v[12:13], v2
	ds_read_b64 v[16:17], v8 offset:18432
	v_lshlrev_b32_e32 v18, 3, v20
	v_mov_b32_e32 v19, 0
	s_waitcnt lgkmcnt(1)
	v_lshl_add_u64 v[12:13], v[12:13], 3, s[82:83]
	v_lshl_add_u64 v[12:13], v[12:13], 0, v[18:19]
	s_waitcnt lgkmcnt(0)
	global_store_dwordx2 v[12:13], v[16:17], off
	s_or_b64 exec, exec, s[4:5]
	s_and_saveexec_b64 s[4:5], s[56:57]
	s_cbranch_execnz .LBB25_283
.LBB25_207:
	s_or_b64 exec, exec, s[4:5]
	s_and_saveexec_b64 s[4:5], s[58:59]
	s_cbranch_execz .LBB25_284
.LBB25_208:
	v_lshlrev_b32_e32 v2, 3, v51
	ds_read_b64 v[12:13], v2
	ds_read_b64 v[16:17], v8 offset:22528
	v_lshlrev_b32_e32 v18, 3, v22
	v_mov_b32_e32 v19, 0
	s_waitcnt lgkmcnt(1)
	v_lshl_add_u64 v[12:13], v[12:13], 3, s[82:83]
	v_lshl_add_u64 v[12:13], v[12:13], 0, v[18:19]
	s_waitcnt lgkmcnt(0)
	global_store_dwordx2 v[12:13], v[16:17], off
	s_or_b64 exec, exec, s[4:5]
	s_and_saveexec_b64 s[4:5], s[60:61]
	s_cbranch_execnz .LBB25_285
.LBB25_209:
	s_or_b64 exec, exec, s[4:5]
	s_and_saveexec_b64 s[4:5], s[62:63]
	s_cbranch_execz .LBB25_286
.LBB25_210:
	v_lshlrev_b32_e32 v2, 3, v49
	ds_read_b64 v[12:13], v2
	ds_read_b64 v[16:17], v8 offset:26624
	v_lshlrev_b32_e32 v18, 3, v24
	v_mov_b32_e32 v19, 0
	s_waitcnt lgkmcnt(1)
	v_lshl_add_u64 v[12:13], v[12:13], 3, s[82:83]
	v_lshl_add_u64 v[12:13], v[12:13], 0, v[18:19]
	s_waitcnt lgkmcnt(0)
	global_store_dwordx2 v[12:13], v[16:17], off
	s_or_b64 exec, exec, s[4:5]
	s_and_saveexec_b64 s[4:5], s[64:65]
	s_cbranch_execnz .LBB25_287
.LBB25_211:
	s_or_b64 exec, exec, s[4:5]
	s_and_saveexec_b64 s[4:5], s[66:67]
	s_cbranch_execz .LBB25_288
.LBB25_212:
	v_lshlrev_b32_e32 v2, 3, v47
	ds_read_b64 v[12:13], v2
	ds_read_b64 v[16:17], v8 offset:30720
	v_lshlrev_b32_e32 v18, 3, v26
	v_mov_b32_e32 v19, 0
	s_waitcnt lgkmcnt(1)
	v_lshl_add_u64 v[12:13], v[12:13], 3, s[82:83]
	v_lshl_add_u64 v[12:13], v[12:13], 0, v[18:19]
	s_waitcnt lgkmcnt(0)
	global_store_dwordx2 v[12:13], v[16:17], off
	s_or_b64 exec, exec, s[4:5]
	s_and_saveexec_b64 s[4:5], s[68:69]
	s_cbranch_execnz .LBB25_289
.LBB25_213:
	s_or_b64 exec, exec, s[4:5]
	s_and_saveexec_b64 s[4:5], s[70:71]
	s_cbranch_execz .LBB25_290
.LBB25_214:
	v_lshlrev_b32_e32 v2, 3, v14
	ds_read_b64 v[10:11], v2
	ds_read_b64 v[12:13], v8 offset:34816
	v_lshlrev_b32_e32 v14, 3, v43
	v_mov_b32_e32 v15, 0
	s_waitcnt lgkmcnt(1)
	v_lshl_add_u64 v[10:11], v[10:11], 3, s[82:83]
	v_lshl_add_u64 v[10:11], v[10:11], 0, v[14:15]
	s_waitcnt lgkmcnt(0)
	global_store_dwordx2 v[10:11], v[12:13], off
	s_or_b64 exec, exec, s[4:5]
	s_and_saveexec_b64 s[4:5], s[72:73]
	s_cbranch_execnz .LBB25_291
.LBB25_215:
	s_or_b64 exec, exec, s[4:5]
	s_add_i32 s33, s33, -1
	s_cmp_eq_u32 s2, s33
	s_cbranch_scc0 .LBB25_217
.LBB25_216:
	ds_read_b64 v[2:3], v8
	v_mov_b32_e32 v7, 0
	v_lshl_add_u64 v[4:5], v[6:7], 0, v[4:5]
	s_waitcnt lgkmcnt(0)
	v_lshl_add_u64 v[2:3], v[4:5], 0, v[2:3]
	global_store_dwordx2 v8, v[2:3], s[86:87]
.LBB25_217:
	s_mov_b64 s[4:5], 0
.LBB25_218:
	s_and_b64 vcc, exec, s[4:5]
	s_cbranch_vccz .LBB25_273
; %bb.219:
	s_mov_b32 s93, 0
	s_lshl_b64 s[4:5], s[92:93], 1
	s_add_u32 s4, s76, s4
	v_mbcnt_hi_u32_b32 v12, -1, v1
	v_and_b32_e32 v26, 0xc0, v0
	s_addc_u32 s5, s77, s5
	v_mul_u32_u24_e32 v3, 18, v26
	v_mov_b32_e32 v5, 0
	v_lshlrev_b32_e32 v4, 1, v12
	v_lshl_add_u64 v[6:7], s[4:5], 0, v[4:5]
	v_lshlrev_b32_e32 v4, 1, v3
	v_lshl_add_u64 v[28:29], v[6:7], 0, v[4:5]
	global_load_ushort v6, v[28:29], off
	s_load_dword s4, s[0:1], 0x5c
	s_load_dword s8, s[0:1], 0x50
	s_add_u32 s0, s0, 0x50
	s_addc_u32 s1, s1, 0
	v_and_b32_e32 v2, 0x3ff, v0
	s_waitcnt lgkmcnt(0)
	s_lshr_b32 s4, s4, 16
	s_cmp_lt_u32 s2, s8
	s_cselect_b32 s5, 12, 18
	s_add_u32 s0, s0, s5
	s_addc_u32 s1, s1, 0
	global_load_ushort v27, v5, s[0:1]
	v_mul_u32_u24_e32 v18, 20, v2
	ds_write2_b32 v18, v5, v5 offset0:4 offset1:5
	ds_write2_b32 v18, v5, v5 offset0:6 offset1:7
	ds_write_b32 v18, v5 offset:32
	global_load_ushort v25, v[28:29], off offset:128
	global_load_ushort v24, v[28:29], off offset:256
	;; [unrolled: 1-line block ×17, first 2 shown]
	v_bfe_u32 v1, v0, 10, 10
	v_bfe_u32 v4, v0, 20, 10
	v_mad_u32_u24 v28, v4, s4, v1
	s_lshl_b32 s0, -1, s89
	v_mov_b32_e32 v0, v5
	v_mov_b32_e32 v30, v5
	s_not_b32 s9, s0
	v_mov_b32_e32 v32, v5
	s_waitcnt lgkmcnt(0)
	s_barrier
	s_waitcnt vmcnt(18)
	; wave barrier
	v_lshrrev_b32_sdwa v1, s88, v6 dst_sel:DWORD dst_unused:UNUSED_PAD src0_sel:DWORD src1_sel:WORD_0
	v_bitop3_b32 v36, v1, s0, v1 bitop3:0x30
	v_and_b32_e32 v4, 1, v36
	v_lshlrev_b32_e32 v1, 30, v36
	v_lshlrev_b32_e32 v31, 29, v36
	v_lshl_add_u64 v[34:35], v[4:5], 0, -1
	v_cmp_ne_u32_e32 vcc, 0, v4
	v_cmp_gt_i64_e64 s[0:1], 0, v[0:1]
	v_not_b32_e32 v4, v1
	v_lshlrev_b32_e32 v33, 28, v36
	s_waitcnt vmcnt(17)
	v_mad_u64_u32 v[0:1], s[10:11], v28, v27, v[2:3]
	v_cmp_gt_i64_e64 s[4:5], 0, v[30:31]
	v_not_b32_e32 v30, v31
	v_xor_b32_e32 v1, vcc_hi, v35
	v_xor_b32_e32 v27, vcc_lo, v34
	v_ashrrev_i32_e32 v4, 31, v4
	v_cmp_gt_i64_e64 s[6:7], 0, v[32:33]
	v_not_b32_e32 v31, v33
	v_ashrrev_i32_e32 v28, 31, v30
	v_lshrrev_b32_e32 v0, 4, v0
	v_and_b32_e32 v1, exec_hi, v1
	v_and_b32_e32 v27, exec_lo, v27
	v_xor_b32_e32 v32, s1, v4
	v_xor_b32_e32 v4, s0, v4
	v_lshlrev_b32_e32 v29, 27, v36
	v_ashrrev_i32_e32 v30, 31, v31
	v_xor_b32_e32 v33, s5, v28
	v_xor_b32_e32 v28, s4, v28
	v_and_b32_e32 v31, 0xffffffc, v0
	v_and_b32_e32 v0, v1, v32
	;; [unrolled: 1-line block ×4, first 2 shown]
	v_mov_b32_e32 v28, v5
	v_not_b32_e32 v4, v29
	v_xor_b32_e32 v34, s7, v30
	v_xor_b32_e32 v30, s6, v30
	v_and_b32_e32 v0, v0, v33
	v_cmp_gt_i64_e32 vcc, 0, v[28:29]
	v_ashrrev_i32_e32 v4, 31, v4
	v_and_b32_e32 v0, v0, v34
	v_and_b32_e32 v1, v1, v30
	v_xor_b32_e32 v27, vcc_hi, v4
	v_xor_b32_e32 v4, vcc_lo, v4
	v_and_b32_e32 v27, v0, v27
	v_and_b32_e32 v4, v1, v4
	v_lshlrev_b32_e32 v1, 26, v36
	v_mov_b32_e32 v0, v5
	v_cmp_gt_i64_e32 vcc, 0, v[0:1]
	v_not_b32_e32 v0, v1
	v_ashrrev_i32_e32 v0, 31, v0
	v_xor_b32_e32 v1, vcc_hi, v0
	v_xor_b32_e32 v0, vcc_lo, v0
	v_and_b32_e32 v27, v27, v1
	v_and_b32_e32 v4, v4, v0
	v_lshlrev_b32_e32 v1, 25, v36
	v_mov_b32_e32 v0, v5
	v_cmp_gt_i64_e32 vcc, 0, v[0:1]
	v_not_b32_e32 v0, v1
	v_ashrrev_i32_e32 v0, 31, v0
	;; [unrolled: 9-line block ×3, first 2 shown]
	v_xor_b32_e32 v1, vcc_hi, v0
	v_xor_b32_e32 v0, vcc_lo, v0
	v_and_b32_e32 v0, v4, v0
	v_and_b32_e32 v1, v27, v1
	v_mbcnt_lo_u32_b32 v4, v0, 0
	v_mbcnt_hi_u32_b32 v27, v1, v4
	v_mul_u32_u24_e32 v37, 20, v36
	v_cmp_eq_u32_e32 vcc, 0, v27
	v_cmp_ne_u64_e64 s[0:1], 0, v[0:1]
	s_and_b64 s[4:5], s[0:1], vcc
	v_add_u32_e32 v29, v31, v37
	s_and_saveexec_b64 s[0:1], s[4:5]
; %bb.220:
	v_bcnt_u32_b32 v0, v0, 0
	v_bcnt_u32_b32 v0, v1, v0
	ds_write_b32 v29, v0 offset:16
; %bb.221:
	s_or_b64 exec, exec, s[0:1]
	s_waitcnt vmcnt(16)
	v_lshrrev_b32_sdwa v0, s88, v25 dst_sel:DWORD dst_unused:UNUSED_PAD src0_sel:DWORD src1_sel:WORD_0
	v_and_b32_e32 v30, s9, v0
	v_mad_u32_u24 v0, v30, 20, v31
	v_and_b32_e32 v4, 1, v30
	; wave barrier
	ds_read_b32 v28, v0 offset:16
	v_lshl_add_u64 v[0:1], v[4:5], 0, -1
	v_cmp_ne_u32_e32 vcc, 0, v4
	v_mul_u32_u24_e32 v32, 20, v30
	s_nop 0
	v_xor_b32_e32 v1, vcc_hi, v1
	v_xor_b32_e32 v0, vcc_lo, v0
	v_and_b32_e32 v4, exec_hi, v1
	v_and_b32_e32 v33, exec_lo, v0
	v_lshlrev_b32_e32 v1, 30, v30
	v_mov_b32_e32 v0, v5
	v_cmp_gt_i64_e32 vcc, 0, v[0:1]
	v_not_b32_e32 v0, v1
	v_ashrrev_i32_e32 v0, 31, v0
	v_xor_b32_e32 v1, vcc_hi, v0
	v_xor_b32_e32 v0, vcc_lo, v0
	v_and_b32_e32 v4, v4, v1
	v_and_b32_e32 v33, v33, v0
	v_lshlrev_b32_e32 v1, 29, v30
	v_mov_b32_e32 v0, v5
	v_cmp_gt_i64_e32 vcc, 0, v[0:1]
	v_not_b32_e32 v0, v1
	v_ashrrev_i32_e32 v0, 31, v0
	v_xor_b32_e32 v1, vcc_hi, v0
	v_xor_b32_e32 v0, vcc_lo, v0
	v_and_b32_e32 v4, v4, v1
	v_and_b32_e32 v33, v33, v0
	;; [unrolled: 9-line block ×7, first 2 shown]
	v_mbcnt_lo_u32_b32 v4, v0, 0
	v_mbcnt_hi_u32_b32 v30, v1, v4
	v_cmp_eq_u32_e32 vcc, 0, v30
	v_cmp_ne_u64_e64 s[0:1], 0, v[0:1]
	s_and_b64 s[4:5], s[0:1], vcc
	v_add_u32_e32 v33, v31, v32
	; wave barrier
	s_and_saveexec_b64 s[0:1], s[4:5]
	s_cbranch_execz .LBB25_223
; %bb.222:
	v_bcnt_u32_b32 v0, v0, 0
	v_bcnt_u32_b32 v0, v1, v0
	s_waitcnt lgkmcnt(0)
	v_add_u32_e32 v0, v28, v0
	ds_write_b32 v33, v0 offset:16
.LBB25_223:
	s_or_b64 exec, exec, s[0:1]
	s_waitcnt vmcnt(15)
	v_lshrrev_b32_sdwa v0, s88, v24 dst_sel:DWORD dst_unused:UNUSED_PAD src0_sel:DWORD src1_sel:WORD_0
	v_and_b32_e32 v34, s9, v0
	v_mad_u32_u24 v0, v34, 20, v31
	; wave barrier
	ds_read_b32 v32, v0 offset:16
	v_and_b32_e32 v0, 1, v34
	v_mov_b32_e32 v1, 0
	v_lshl_add_u64 v[4:5], v[0:1], 0, -1
	v_cmp_ne_u32_e32 vcc, 0, v0
	v_mul_u32_u24_e32 v35, 20, v34
	s_nop 0
	v_xor_b32_e32 v4, vcc_lo, v4
	v_xor_b32_e32 v0, vcc_hi, v5
	v_and_b32_e32 v36, exec_lo, v4
	v_lshlrev_b32_e32 v5, 30, v34
	v_mov_b32_e32 v4, v1
	v_cmp_gt_i64_e32 vcc, 0, v[4:5]
	v_not_b32_e32 v4, v5
	v_ashrrev_i32_e32 v4, 31, v4
	v_and_b32_e32 v0, exec_hi, v0
	v_xor_b32_e32 v5, vcc_hi, v4
	v_xor_b32_e32 v4, vcc_lo, v4
	v_and_b32_e32 v0, v0, v5
	v_and_b32_e32 v36, v36, v4
	v_lshlrev_b32_e32 v5, 29, v34
	v_mov_b32_e32 v4, v1
	v_cmp_gt_i64_e32 vcc, 0, v[4:5]
	v_not_b32_e32 v4, v5
	v_ashrrev_i32_e32 v4, 31, v4
	v_xor_b32_e32 v5, vcc_hi, v4
	v_xor_b32_e32 v4, vcc_lo, v4
	v_and_b32_e32 v0, v0, v5
	v_and_b32_e32 v36, v36, v4
	v_lshlrev_b32_e32 v5, 28, v34
	v_mov_b32_e32 v4, v1
	v_cmp_gt_i64_e32 vcc, 0, v[4:5]
	v_not_b32_e32 v4, v5
	v_ashrrev_i32_e32 v4, 31, v4
	;; [unrolled: 9-line block ×6, first 2 shown]
	v_xor_b32_e32 v5, vcc_hi, v4
	v_xor_b32_e32 v4, vcc_lo, v4
	v_and_b32_e32 v4, v36, v4
	v_and_b32_e32 v5, v0, v5
	v_mbcnt_lo_u32_b32 v0, v4, 0
	v_mbcnt_hi_u32_b32 v34, v5, v0
	v_cmp_eq_u32_e32 vcc, 0, v34
	v_cmp_ne_u64_e64 s[0:1], 0, v[4:5]
	s_and_b64 s[4:5], s[0:1], vcc
	v_add_u32_e32 v36, v31, v35
	; wave barrier
	s_and_saveexec_b64 s[0:1], s[4:5]
	s_cbranch_execz .LBB25_225
; %bb.224:
	v_bcnt_u32_b32 v0, v4, 0
	v_bcnt_u32_b32 v0, v5, v0
	s_waitcnt lgkmcnt(0)
	v_add_u32_e32 v0, v32, v0
	ds_write_b32 v36, v0 offset:16
.LBB25_225:
	s_or_b64 exec, exec, s[0:1]
	s_waitcnt vmcnt(14)
	v_lshrrev_b32_sdwa v0, s88, v23 dst_sel:DWORD dst_unused:UNUSED_PAD src0_sel:DWORD src1_sel:WORD_0
	v_and_b32_e32 v37, s9, v0
	v_mad_u32_u24 v0, v37, 20, v31
	; wave barrier
	ds_read_b32 v35, v0 offset:16
	v_and_b32_e32 v0, 1, v37
	v_lshl_add_u64 v[4:5], v[0:1], 0, -1
	v_cmp_ne_u32_e32 vcc, 0, v0
	v_mul_u32_u24_e32 v38, 20, v37
	s_nop 0
	v_xor_b32_e32 v4, vcc_lo, v4
	v_xor_b32_e32 v0, vcc_hi, v5
	v_and_b32_e32 v39, exec_lo, v4
	v_lshlrev_b32_e32 v5, 30, v37
	v_mov_b32_e32 v4, v1
	v_cmp_gt_i64_e32 vcc, 0, v[4:5]
	v_not_b32_e32 v4, v5
	v_ashrrev_i32_e32 v4, 31, v4
	v_and_b32_e32 v0, exec_hi, v0
	v_xor_b32_e32 v5, vcc_hi, v4
	v_xor_b32_e32 v4, vcc_lo, v4
	v_and_b32_e32 v0, v0, v5
	v_and_b32_e32 v39, v39, v4
	v_lshlrev_b32_e32 v5, 29, v37
	v_mov_b32_e32 v4, v1
	v_cmp_gt_i64_e32 vcc, 0, v[4:5]
	v_not_b32_e32 v4, v5
	v_ashrrev_i32_e32 v4, 31, v4
	v_xor_b32_e32 v5, vcc_hi, v4
	v_xor_b32_e32 v4, vcc_lo, v4
	v_and_b32_e32 v0, v0, v5
	v_and_b32_e32 v39, v39, v4
	v_lshlrev_b32_e32 v5, 28, v37
	v_mov_b32_e32 v4, v1
	v_cmp_gt_i64_e32 vcc, 0, v[4:5]
	v_not_b32_e32 v4, v5
	v_ashrrev_i32_e32 v4, 31, v4
	;; [unrolled: 9-line block ×5, first 2 shown]
	v_xor_b32_e32 v5, vcc_hi, v4
	v_xor_b32_e32 v4, vcc_lo, v4
	v_and_b32_e32 v0, v0, v5
	v_lshlrev_b32_e32 v5, 24, v37
	v_and_b32_e32 v39, v39, v4
	v_mov_b32_e32 v4, v1
	v_not_b32_e32 v1, v5
	v_cmp_gt_i64_e32 vcc, 0, v[4:5]
	v_ashrrev_i32_e32 v1, 31, v1
	; wave barrier
	s_nop 0
	v_xor_b32_e32 v4, vcc_hi, v1
	v_xor_b32_e32 v5, vcc_lo, v1
	v_and_b32_e32 v1, v0, v4
	v_and_b32_e32 v0, v39, v5
	v_mbcnt_lo_u32_b32 v4, v0, 0
	v_mbcnt_hi_u32_b32 v37, v1, v4
	v_cmp_eq_u32_e32 vcc, 0, v37
	v_cmp_ne_u64_e64 s[0:1], 0, v[0:1]
	s_and_b64 s[4:5], s[0:1], vcc
	v_add_u32_e32 v39, v31, v38
	s_and_saveexec_b64 s[0:1], s[4:5]
	s_cbranch_execz .LBB25_227
; %bb.226:
	v_bcnt_u32_b32 v0, v0, 0
	v_bcnt_u32_b32 v0, v1, v0
	s_waitcnt lgkmcnt(0)
	v_add_u32_e32 v0, v35, v0
	ds_write_b32 v39, v0 offset:16
.LBB25_227:
	s_or_b64 exec, exec, s[0:1]
	s_waitcnt vmcnt(13)
	v_lshrrev_b32_sdwa v0, s88, v22 dst_sel:DWORD dst_unused:UNUSED_PAD src0_sel:DWORD src1_sel:WORD_0
	v_and_b32_e32 v40, s9, v0
	v_mad_u32_u24 v0, v40, 20, v31
	; wave barrier
	ds_read_b32 v38, v0 offset:16
	v_and_b32_e32 v0, 1, v40
	v_mov_b32_e32 v1, 0
	v_lshl_add_u64 v[4:5], v[0:1], 0, -1
	v_cmp_ne_u32_e32 vcc, 0, v0
	v_mul_u32_u24_e32 v41, 20, v40
	s_nop 0
	v_xor_b32_e32 v4, vcc_lo, v4
	v_xor_b32_e32 v0, vcc_hi, v5
	v_and_b32_e32 v42, exec_lo, v4
	v_lshlrev_b32_e32 v5, 30, v40
	v_mov_b32_e32 v4, v1
	v_cmp_gt_i64_e32 vcc, 0, v[4:5]
	v_not_b32_e32 v4, v5
	v_ashrrev_i32_e32 v4, 31, v4
	v_and_b32_e32 v0, exec_hi, v0
	v_xor_b32_e32 v5, vcc_hi, v4
	v_xor_b32_e32 v4, vcc_lo, v4
	v_and_b32_e32 v0, v0, v5
	v_and_b32_e32 v42, v42, v4
	v_lshlrev_b32_e32 v5, 29, v40
	v_mov_b32_e32 v4, v1
	v_cmp_gt_i64_e32 vcc, 0, v[4:5]
	v_not_b32_e32 v4, v5
	v_ashrrev_i32_e32 v4, 31, v4
	v_xor_b32_e32 v5, vcc_hi, v4
	v_xor_b32_e32 v4, vcc_lo, v4
	v_and_b32_e32 v0, v0, v5
	v_and_b32_e32 v42, v42, v4
	v_lshlrev_b32_e32 v5, 28, v40
	v_mov_b32_e32 v4, v1
	v_cmp_gt_i64_e32 vcc, 0, v[4:5]
	v_not_b32_e32 v4, v5
	v_ashrrev_i32_e32 v4, 31, v4
	;; [unrolled: 9-line block ×6, first 2 shown]
	v_xor_b32_e32 v5, vcc_hi, v4
	v_xor_b32_e32 v4, vcc_lo, v4
	v_and_b32_e32 v4, v42, v4
	v_and_b32_e32 v5, v0, v5
	v_mbcnt_lo_u32_b32 v0, v4, 0
	v_mbcnt_hi_u32_b32 v40, v5, v0
	v_cmp_eq_u32_e32 vcc, 0, v40
	v_cmp_ne_u64_e64 s[0:1], 0, v[4:5]
	s_and_b64 s[4:5], s[0:1], vcc
	v_add_u32_e32 v42, v31, v41
	; wave barrier
	s_and_saveexec_b64 s[0:1], s[4:5]
	s_cbranch_execz .LBB25_229
; %bb.228:
	v_bcnt_u32_b32 v0, v4, 0
	v_bcnt_u32_b32 v0, v5, v0
	s_waitcnt lgkmcnt(0)
	v_add_u32_e32 v0, v38, v0
	ds_write_b32 v42, v0 offset:16
.LBB25_229:
	s_or_b64 exec, exec, s[0:1]
	s_waitcnt vmcnt(12)
	v_lshrrev_b32_sdwa v0, s88, v21 dst_sel:DWORD dst_unused:UNUSED_PAD src0_sel:DWORD src1_sel:WORD_0
	v_and_b32_e32 v43, s9, v0
	v_mad_u32_u24 v0, v43, 20, v31
	; wave barrier
	ds_read_b32 v41, v0 offset:16
	v_and_b32_e32 v0, 1, v43
	v_lshl_add_u64 v[4:5], v[0:1], 0, -1
	v_cmp_ne_u32_e32 vcc, 0, v0
	v_mul_u32_u24_e32 v44, 20, v43
	s_nop 0
	v_xor_b32_e32 v4, vcc_lo, v4
	v_xor_b32_e32 v0, vcc_hi, v5
	v_and_b32_e32 v45, exec_lo, v4
	v_lshlrev_b32_e32 v5, 30, v43
	v_mov_b32_e32 v4, v1
	v_cmp_gt_i64_e32 vcc, 0, v[4:5]
	v_not_b32_e32 v4, v5
	v_ashrrev_i32_e32 v4, 31, v4
	v_and_b32_e32 v0, exec_hi, v0
	v_xor_b32_e32 v5, vcc_hi, v4
	v_xor_b32_e32 v4, vcc_lo, v4
	v_and_b32_e32 v0, v0, v5
	v_and_b32_e32 v45, v45, v4
	v_lshlrev_b32_e32 v5, 29, v43
	v_mov_b32_e32 v4, v1
	v_cmp_gt_i64_e32 vcc, 0, v[4:5]
	v_not_b32_e32 v4, v5
	v_ashrrev_i32_e32 v4, 31, v4
	v_xor_b32_e32 v5, vcc_hi, v4
	v_xor_b32_e32 v4, vcc_lo, v4
	v_and_b32_e32 v0, v0, v5
	v_and_b32_e32 v45, v45, v4
	v_lshlrev_b32_e32 v5, 28, v43
	v_mov_b32_e32 v4, v1
	v_cmp_gt_i64_e32 vcc, 0, v[4:5]
	v_not_b32_e32 v4, v5
	v_ashrrev_i32_e32 v4, 31, v4
	;; [unrolled: 9-line block ×5, first 2 shown]
	v_xor_b32_e32 v5, vcc_hi, v4
	v_xor_b32_e32 v4, vcc_lo, v4
	v_and_b32_e32 v0, v0, v5
	v_lshlrev_b32_e32 v5, 24, v43
	v_and_b32_e32 v45, v45, v4
	v_mov_b32_e32 v4, v1
	v_not_b32_e32 v1, v5
	v_cmp_gt_i64_e32 vcc, 0, v[4:5]
	v_ashrrev_i32_e32 v1, 31, v1
	; wave barrier
	s_nop 0
	v_xor_b32_e32 v4, vcc_hi, v1
	v_xor_b32_e32 v5, vcc_lo, v1
	v_and_b32_e32 v1, v0, v4
	v_and_b32_e32 v0, v45, v5
	v_mbcnt_lo_u32_b32 v4, v0, 0
	v_mbcnt_hi_u32_b32 v43, v1, v4
	v_cmp_eq_u32_e32 vcc, 0, v43
	v_cmp_ne_u64_e64 s[0:1], 0, v[0:1]
	s_and_b64 s[4:5], s[0:1], vcc
	v_add_u32_e32 v45, v31, v44
	s_and_saveexec_b64 s[0:1], s[4:5]
	s_cbranch_execz .LBB25_231
; %bb.230:
	v_bcnt_u32_b32 v0, v0, 0
	v_bcnt_u32_b32 v0, v1, v0
	s_waitcnt lgkmcnt(0)
	v_add_u32_e32 v0, v41, v0
	ds_write_b32 v45, v0 offset:16
.LBB25_231:
	s_or_b64 exec, exec, s[0:1]
	s_waitcnt vmcnt(11)
	v_lshrrev_b32_sdwa v0, s88, v20 dst_sel:DWORD dst_unused:UNUSED_PAD src0_sel:DWORD src1_sel:WORD_0
	v_and_b32_e32 v46, s9, v0
	v_mad_u32_u24 v0, v46, 20, v31
	; wave barrier
	ds_read_b32 v44, v0 offset:16
	v_and_b32_e32 v0, 1, v46
	v_mov_b32_e32 v1, 0
	v_lshl_add_u64 v[4:5], v[0:1], 0, -1
	v_cmp_ne_u32_e32 vcc, 0, v0
	v_mul_u32_u24_e32 v47, 20, v46
	s_nop 0
	v_xor_b32_e32 v4, vcc_lo, v4
	v_xor_b32_e32 v0, vcc_hi, v5
	v_and_b32_e32 v48, exec_lo, v4
	v_lshlrev_b32_e32 v5, 30, v46
	v_mov_b32_e32 v4, v1
	v_cmp_gt_i64_e32 vcc, 0, v[4:5]
	v_not_b32_e32 v4, v5
	v_ashrrev_i32_e32 v4, 31, v4
	v_and_b32_e32 v0, exec_hi, v0
	v_xor_b32_e32 v5, vcc_hi, v4
	v_xor_b32_e32 v4, vcc_lo, v4
	v_and_b32_e32 v0, v0, v5
	v_and_b32_e32 v48, v48, v4
	v_lshlrev_b32_e32 v5, 29, v46
	v_mov_b32_e32 v4, v1
	v_cmp_gt_i64_e32 vcc, 0, v[4:5]
	v_not_b32_e32 v4, v5
	v_ashrrev_i32_e32 v4, 31, v4
	v_xor_b32_e32 v5, vcc_hi, v4
	v_xor_b32_e32 v4, vcc_lo, v4
	v_and_b32_e32 v0, v0, v5
	v_and_b32_e32 v48, v48, v4
	v_lshlrev_b32_e32 v5, 28, v46
	v_mov_b32_e32 v4, v1
	v_cmp_gt_i64_e32 vcc, 0, v[4:5]
	v_not_b32_e32 v4, v5
	v_ashrrev_i32_e32 v4, 31, v4
	;; [unrolled: 9-line block ×6, first 2 shown]
	v_xor_b32_e32 v5, vcc_hi, v4
	v_xor_b32_e32 v4, vcc_lo, v4
	v_and_b32_e32 v4, v48, v4
	v_and_b32_e32 v5, v0, v5
	v_mbcnt_lo_u32_b32 v0, v4, 0
	v_mbcnt_hi_u32_b32 v46, v5, v0
	v_cmp_eq_u32_e32 vcc, 0, v46
	v_cmp_ne_u64_e64 s[0:1], 0, v[4:5]
	s_and_b64 s[4:5], s[0:1], vcc
	v_add_u32_e32 v48, v31, v47
	; wave barrier
	s_and_saveexec_b64 s[0:1], s[4:5]
	s_cbranch_execz .LBB25_233
; %bb.232:
	v_bcnt_u32_b32 v0, v4, 0
	v_bcnt_u32_b32 v0, v5, v0
	s_waitcnt lgkmcnt(0)
	v_add_u32_e32 v0, v44, v0
	ds_write_b32 v48, v0 offset:16
.LBB25_233:
	s_or_b64 exec, exec, s[0:1]
	s_waitcnt vmcnt(10)
	v_lshrrev_b32_sdwa v0, s88, v19 dst_sel:DWORD dst_unused:UNUSED_PAD src0_sel:DWORD src1_sel:WORD_0
	v_and_b32_e32 v49, s9, v0
	v_mad_u32_u24 v0, v49, 20, v31
	; wave barrier
	ds_read_b32 v47, v0 offset:16
	v_and_b32_e32 v0, 1, v49
	v_lshl_add_u64 v[4:5], v[0:1], 0, -1
	v_cmp_ne_u32_e32 vcc, 0, v0
	v_mul_u32_u24_e32 v50, 20, v49
	s_nop 0
	v_xor_b32_e32 v4, vcc_lo, v4
	v_xor_b32_e32 v0, vcc_hi, v5
	v_and_b32_e32 v51, exec_lo, v4
	v_lshlrev_b32_e32 v5, 30, v49
	v_mov_b32_e32 v4, v1
	v_cmp_gt_i64_e32 vcc, 0, v[4:5]
	v_not_b32_e32 v4, v5
	v_ashrrev_i32_e32 v4, 31, v4
	v_and_b32_e32 v0, exec_hi, v0
	v_xor_b32_e32 v5, vcc_hi, v4
	v_xor_b32_e32 v4, vcc_lo, v4
	v_and_b32_e32 v0, v0, v5
	v_and_b32_e32 v51, v51, v4
	v_lshlrev_b32_e32 v5, 29, v49
	v_mov_b32_e32 v4, v1
	v_cmp_gt_i64_e32 vcc, 0, v[4:5]
	v_not_b32_e32 v4, v5
	v_ashrrev_i32_e32 v4, 31, v4
	v_xor_b32_e32 v5, vcc_hi, v4
	v_xor_b32_e32 v4, vcc_lo, v4
	v_and_b32_e32 v0, v0, v5
	v_and_b32_e32 v51, v51, v4
	v_lshlrev_b32_e32 v5, 28, v49
	v_mov_b32_e32 v4, v1
	v_cmp_gt_i64_e32 vcc, 0, v[4:5]
	v_not_b32_e32 v4, v5
	v_ashrrev_i32_e32 v4, 31, v4
	;; [unrolled: 9-line block ×5, first 2 shown]
	v_xor_b32_e32 v5, vcc_hi, v4
	v_xor_b32_e32 v4, vcc_lo, v4
	v_and_b32_e32 v0, v0, v5
	v_lshlrev_b32_e32 v5, 24, v49
	v_and_b32_e32 v51, v51, v4
	v_mov_b32_e32 v4, v1
	v_not_b32_e32 v1, v5
	v_cmp_gt_i64_e32 vcc, 0, v[4:5]
	v_ashrrev_i32_e32 v1, 31, v1
	; wave barrier
	s_nop 0
	v_xor_b32_e32 v4, vcc_hi, v1
	v_xor_b32_e32 v5, vcc_lo, v1
	v_and_b32_e32 v1, v0, v4
	v_and_b32_e32 v0, v51, v5
	v_mbcnt_lo_u32_b32 v4, v0, 0
	v_mbcnt_hi_u32_b32 v49, v1, v4
	v_cmp_eq_u32_e32 vcc, 0, v49
	v_cmp_ne_u64_e64 s[0:1], 0, v[0:1]
	s_and_b64 s[4:5], s[0:1], vcc
	v_add_u32_e32 v51, v31, v50
	s_and_saveexec_b64 s[0:1], s[4:5]
	s_cbranch_execz .LBB25_235
; %bb.234:
	v_bcnt_u32_b32 v0, v0, 0
	v_bcnt_u32_b32 v0, v1, v0
	s_waitcnt lgkmcnt(0)
	v_add_u32_e32 v0, v47, v0
	ds_write_b32 v51, v0 offset:16
.LBB25_235:
	s_or_b64 exec, exec, s[0:1]
	s_waitcnt vmcnt(9)
	v_lshrrev_b32_sdwa v0, s88, v17 dst_sel:DWORD dst_unused:UNUSED_PAD src0_sel:DWORD src1_sel:WORD_0
	v_and_b32_e32 v52, s9, v0
	v_mad_u32_u24 v0, v52, 20, v31
	; wave barrier
	ds_read_b32 v50, v0 offset:16
	v_and_b32_e32 v0, 1, v52
	v_mov_b32_e32 v1, 0
	v_lshl_add_u64 v[4:5], v[0:1], 0, -1
	v_cmp_ne_u32_e32 vcc, 0, v0
	v_mul_u32_u24_e32 v53, 20, v52
	s_nop 0
	v_xor_b32_e32 v4, vcc_lo, v4
	v_xor_b32_e32 v0, vcc_hi, v5
	v_and_b32_e32 v54, exec_lo, v4
	v_lshlrev_b32_e32 v5, 30, v52
	v_mov_b32_e32 v4, v1
	v_cmp_gt_i64_e32 vcc, 0, v[4:5]
	v_not_b32_e32 v4, v5
	v_ashrrev_i32_e32 v4, 31, v4
	v_and_b32_e32 v0, exec_hi, v0
	v_xor_b32_e32 v5, vcc_hi, v4
	v_xor_b32_e32 v4, vcc_lo, v4
	v_and_b32_e32 v0, v0, v5
	v_and_b32_e32 v54, v54, v4
	v_lshlrev_b32_e32 v5, 29, v52
	v_mov_b32_e32 v4, v1
	v_cmp_gt_i64_e32 vcc, 0, v[4:5]
	v_not_b32_e32 v4, v5
	v_ashrrev_i32_e32 v4, 31, v4
	v_xor_b32_e32 v5, vcc_hi, v4
	v_xor_b32_e32 v4, vcc_lo, v4
	v_and_b32_e32 v0, v0, v5
	v_and_b32_e32 v54, v54, v4
	v_lshlrev_b32_e32 v5, 28, v52
	v_mov_b32_e32 v4, v1
	v_cmp_gt_i64_e32 vcc, 0, v[4:5]
	v_not_b32_e32 v4, v5
	v_ashrrev_i32_e32 v4, 31, v4
	;; [unrolled: 9-line block ×6, first 2 shown]
	v_xor_b32_e32 v5, vcc_hi, v4
	v_xor_b32_e32 v4, vcc_lo, v4
	v_and_b32_e32 v4, v54, v4
	v_and_b32_e32 v5, v0, v5
	v_mbcnt_lo_u32_b32 v0, v4, 0
	v_mbcnt_hi_u32_b32 v52, v5, v0
	v_cmp_eq_u32_e32 vcc, 0, v52
	v_cmp_ne_u64_e64 s[0:1], 0, v[4:5]
	s_and_b64 s[4:5], s[0:1], vcc
	v_add_u32_e32 v54, v31, v53
	; wave barrier
	s_and_saveexec_b64 s[0:1], s[4:5]
	s_cbranch_execz .LBB25_237
; %bb.236:
	v_bcnt_u32_b32 v0, v4, 0
	v_bcnt_u32_b32 v0, v5, v0
	s_waitcnt lgkmcnt(0)
	v_add_u32_e32 v0, v50, v0
	ds_write_b32 v54, v0 offset:16
.LBB25_237:
	s_or_b64 exec, exec, s[0:1]
	s_waitcnt vmcnt(8)
	v_lshrrev_b32_sdwa v0, s88, v16 dst_sel:DWORD dst_unused:UNUSED_PAD src0_sel:DWORD src1_sel:WORD_0
	v_and_b32_e32 v55, s9, v0
	v_mad_u32_u24 v0, v55, 20, v31
	; wave barrier
	ds_read_b32 v53, v0 offset:16
	v_and_b32_e32 v0, 1, v55
	v_lshl_add_u64 v[4:5], v[0:1], 0, -1
	v_cmp_ne_u32_e32 vcc, 0, v0
	v_mul_u32_u24_e32 v56, 20, v55
	s_nop 0
	v_xor_b32_e32 v4, vcc_lo, v4
	v_xor_b32_e32 v0, vcc_hi, v5
	v_and_b32_e32 v57, exec_lo, v4
	v_lshlrev_b32_e32 v5, 30, v55
	v_mov_b32_e32 v4, v1
	v_cmp_gt_i64_e32 vcc, 0, v[4:5]
	v_not_b32_e32 v4, v5
	v_ashrrev_i32_e32 v4, 31, v4
	v_and_b32_e32 v0, exec_hi, v0
	v_xor_b32_e32 v5, vcc_hi, v4
	v_xor_b32_e32 v4, vcc_lo, v4
	v_and_b32_e32 v0, v0, v5
	v_and_b32_e32 v57, v57, v4
	v_lshlrev_b32_e32 v5, 29, v55
	v_mov_b32_e32 v4, v1
	v_cmp_gt_i64_e32 vcc, 0, v[4:5]
	v_not_b32_e32 v4, v5
	v_ashrrev_i32_e32 v4, 31, v4
	v_xor_b32_e32 v5, vcc_hi, v4
	v_xor_b32_e32 v4, vcc_lo, v4
	v_and_b32_e32 v0, v0, v5
	v_and_b32_e32 v57, v57, v4
	v_lshlrev_b32_e32 v5, 28, v55
	v_mov_b32_e32 v4, v1
	v_cmp_gt_i64_e32 vcc, 0, v[4:5]
	v_not_b32_e32 v4, v5
	v_ashrrev_i32_e32 v4, 31, v4
	;; [unrolled: 9-line block ×5, first 2 shown]
	v_xor_b32_e32 v5, vcc_hi, v4
	v_xor_b32_e32 v4, vcc_lo, v4
	v_and_b32_e32 v0, v0, v5
	v_lshlrev_b32_e32 v5, 24, v55
	v_and_b32_e32 v57, v57, v4
	v_mov_b32_e32 v4, v1
	v_not_b32_e32 v1, v5
	v_cmp_gt_i64_e32 vcc, 0, v[4:5]
	v_ashrrev_i32_e32 v1, 31, v1
	; wave barrier
	s_nop 0
	v_xor_b32_e32 v4, vcc_hi, v1
	v_xor_b32_e32 v5, vcc_lo, v1
	v_and_b32_e32 v1, v0, v4
	v_and_b32_e32 v0, v57, v5
	v_mbcnt_lo_u32_b32 v4, v0, 0
	v_mbcnt_hi_u32_b32 v55, v1, v4
	v_cmp_eq_u32_e32 vcc, 0, v55
	v_cmp_ne_u64_e64 s[0:1], 0, v[0:1]
	s_and_b64 s[4:5], s[0:1], vcc
	v_add_u32_e32 v57, v31, v56
	s_and_saveexec_b64 s[0:1], s[4:5]
	s_cbranch_execz .LBB25_239
; %bb.238:
	v_bcnt_u32_b32 v0, v0, 0
	v_bcnt_u32_b32 v0, v1, v0
	s_waitcnt lgkmcnt(0)
	v_add_u32_e32 v0, v53, v0
	ds_write_b32 v57, v0 offset:16
.LBB25_239:
	s_or_b64 exec, exec, s[0:1]
	s_waitcnt vmcnt(7)
	v_lshrrev_b32_sdwa v0, s88, v15 dst_sel:DWORD dst_unused:UNUSED_PAD src0_sel:DWORD src1_sel:WORD_0
	v_and_b32_e32 v58, s9, v0
	v_mad_u32_u24 v0, v58, 20, v31
	; wave barrier
	ds_read_b32 v56, v0 offset:16
	v_and_b32_e32 v0, 1, v58
	v_mov_b32_e32 v1, 0
	v_lshl_add_u64 v[4:5], v[0:1], 0, -1
	v_cmp_ne_u32_e32 vcc, 0, v0
	v_mul_u32_u24_e32 v59, 20, v58
	s_nop 0
	v_xor_b32_e32 v4, vcc_lo, v4
	v_xor_b32_e32 v0, vcc_hi, v5
	v_and_b32_e32 v60, exec_lo, v4
	v_lshlrev_b32_e32 v5, 30, v58
	v_mov_b32_e32 v4, v1
	v_cmp_gt_i64_e32 vcc, 0, v[4:5]
	v_not_b32_e32 v4, v5
	v_ashrrev_i32_e32 v4, 31, v4
	v_and_b32_e32 v0, exec_hi, v0
	v_xor_b32_e32 v5, vcc_hi, v4
	v_xor_b32_e32 v4, vcc_lo, v4
	v_and_b32_e32 v0, v0, v5
	v_and_b32_e32 v60, v60, v4
	v_lshlrev_b32_e32 v5, 29, v58
	v_mov_b32_e32 v4, v1
	v_cmp_gt_i64_e32 vcc, 0, v[4:5]
	v_not_b32_e32 v4, v5
	v_ashrrev_i32_e32 v4, 31, v4
	v_xor_b32_e32 v5, vcc_hi, v4
	v_xor_b32_e32 v4, vcc_lo, v4
	v_and_b32_e32 v0, v0, v5
	v_and_b32_e32 v60, v60, v4
	v_lshlrev_b32_e32 v5, 28, v58
	v_mov_b32_e32 v4, v1
	v_cmp_gt_i64_e32 vcc, 0, v[4:5]
	v_not_b32_e32 v4, v5
	v_ashrrev_i32_e32 v4, 31, v4
	;; [unrolled: 9-line block ×6, first 2 shown]
	v_xor_b32_e32 v5, vcc_hi, v4
	v_xor_b32_e32 v4, vcc_lo, v4
	v_and_b32_e32 v4, v60, v4
	v_and_b32_e32 v5, v0, v5
	v_mbcnt_lo_u32_b32 v0, v4, 0
	v_mbcnt_hi_u32_b32 v58, v5, v0
	v_cmp_eq_u32_e32 vcc, 0, v58
	v_cmp_ne_u64_e64 s[0:1], 0, v[4:5]
	s_and_b64 s[4:5], s[0:1], vcc
	v_add_u32_e32 v60, v31, v59
	; wave barrier
	s_and_saveexec_b64 s[0:1], s[4:5]
	s_cbranch_execz .LBB25_241
; %bb.240:
	v_bcnt_u32_b32 v0, v4, 0
	v_bcnt_u32_b32 v0, v5, v0
	s_waitcnt lgkmcnt(0)
	v_add_u32_e32 v0, v56, v0
	ds_write_b32 v60, v0 offset:16
.LBB25_241:
	s_or_b64 exec, exec, s[0:1]
	s_waitcnt vmcnt(6)
	v_lshrrev_b32_sdwa v0, s88, v14 dst_sel:DWORD dst_unused:UNUSED_PAD src0_sel:DWORD src1_sel:WORD_0
	v_and_b32_e32 v61, s9, v0
	v_mad_u32_u24 v0, v61, 20, v31
	; wave barrier
	ds_read_b32 v59, v0 offset:16
	v_and_b32_e32 v0, 1, v61
	v_lshl_add_u64 v[4:5], v[0:1], 0, -1
	v_cmp_ne_u32_e32 vcc, 0, v0
	v_mul_u32_u24_e32 v62, 20, v61
	s_nop 0
	v_xor_b32_e32 v4, vcc_lo, v4
	v_xor_b32_e32 v0, vcc_hi, v5
	v_and_b32_e32 v63, exec_lo, v4
	v_lshlrev_b32_e32 v5, 30, v61
	v_mov_b32_e32 v4, v1
	v_cmp_gt_i64_e32 vcc, 0, v[4:5]
	v_not_b32_e32 v4, v5
	v_ashrrev_i32_e32 v4, 31, v4
	v_and_b32_e32 v0, exec_hi, v0
	v_xor_b32_e32 v5, vcc_hi, v4
	v_xor_b32_e32 v4, vcc_lo, v4
	v_and_b32_e32 v0, v0, v5
	v_and_b32_e32 v63, v63, v4
	v_lshlrev_b32_e32 v5, 29, v61
	v_mov_b32_e32 v4, v1
	v_cmp_gt_i64_e32 vcc, 0, v[4:5]
	v_not_b32_e32 v4, v5
	v_ashrrev_i32_e32 v4, 31, v4
	v_xor_b32_e32 v5, vcc_hi, v4
	v_xor_b32_e32 v4, vcc_lo, v4
	v_and_b32_e32 v0, v0, v5
	v_and_b32_e32 v63, v63, v4
	v_lshlrev_b32_e32 v5, 28, v61
	v_mov_b32_e32 v4, v1
	v_cmp_gt_i64_e32 vcc, 0, v[4:5]
	v_not_b32_e32 v4, v5
	v_ashrrev_i32_e32 v4, 31, v4
	;; [unrolled: 9-line block ×5, first 2 shown]
	v_xor_b32_e32 v5, vcc_hi, v4
	v_xor_b32_e32 v4, vcc_lo, v4
	v_and_b32_e32 v0, v0, v5
	v_lshlrev_b32_e32 v5, 24, v61
	v_and_b32_e32 v63, v63, v4
	v_mov_b32_e32 v4, v1
	v_not_b32_e32 v1, v5
	v_cmp_gt_i64_e32 vcc, 0, v[4:5]
	v_ashrrev_i32_e32 v1, 31, v1
	; wave barrier
	s_nop 0
	v_xor_b32_e32 v4, vcc_hi, v1
	v_xor_b32_e32 v5, vcc_lo, v1
	v_and_b32_e32 v1, v0, v4
	v_and_b32_e32 v0, v63, v5
	v_mbcnt_lo_u32_b32 v4, v0, 0
	v_mbcnt_hi_u32_b32 v61, v1, v4
	v_cmp_eq_u32_e32 vcc, 0, v61
	v_cmp_ne_u64_e64 s[0:1], 0, v[0:1]
	s_and_b64 s[4:5], s[0:1], vcc
	v_add_u32_e32 v63, v31, v62
	s_and_saveexec_b64 s[0:1], s[4:5]
	s_cbranch_execz .LBB25_243
; %bb.242:
	v_bcnt_u32_b32 v0, v0, 0
	v_bcnt_u32_b32 v0, v1, v0
	s_waitcnt lgkmcnt(0)
	v_add_u32_e32 v0, v59, v0
	ds_write_b32 v63, v0 offset:16
.LBB25_243:
	s_or_b64 exec, exec, s[0:1]
	s_waitcnt vmcnt(5)
	v_lshrrev_b32_sdwa v0, s88, v13 dst_sel:DWORD dst_unused:UNUSED_PAD src0_sel:DWORD src1_sel:WORD_0
	v_and_b32_e32 v64, s9, v0
	v_mad_u32_u24 v0, v64, 20, v31
	; wave barrier
	ds_read_b32 v62, v0 offset:16
	v_and_b32_e32 v0, 1, v64
	v_mov_b32_e32 v1, 0
	v_lshl_add_u64 v[4:5], v[0:1], 0, -1
	v_cmp_ne_u32_e32 vcc, 0, v0
	v_mul_u32_u24_e32 v65, 20, v64
	s_nop 0
	v_xor_b32_e32 v4, vcc_lo, v4
	v_xor_b32_e32 v0, vcc_hi, v5
	v_and_b32_e32 v66, exec_lo, v4
	v_lshlrev_b32_e32 v5, 30, v64
	v_mov_b32_e32 v4, v1
	v_cmp_gt_i64_e32 vcc, 0, v[4:5]
	v_not_b32_e32 v4, v5
	v_ashrrev_i32_e32 v4, 31, v4
	v_and_b32_e32 v0, exec_hi, v0
	v_xor_b32_e32 v5, vcc_hi, v4
	v_xor_b32_e32 v4, vcc_lo, v4
	v_and_b32_e32 v0, v0, v5
	v_and_b32_e32 v66, v66, v4
	v_lshlrev_b32_e32 v5, 29, v64
	v_mov_b32_e32 v4, v1
	v_cmp_gt_i64_e32 vcc, 0, v[4:5]
	v_not_b32_e32 v4, v5
	v_ashrrev_i32_e32 v4, 31, v4
	v_xor_b32_e32 v5, vcc_hi, v4
	v_xor_b32_e32 v4, vcc_lo, v4
	v_and_b32_e32 v0, v0, v5
	v_and_b32_e32 v66, v66, v4
	v_lshlrev_b32_e32 v5, 28, v64
	v_mov_b32_e32 v4, v1
	v_cmp_gt_i64_e32 vcc, 0, v[4:5]
	v_not_b32_e32 v4, v5
	v_ashrrev_i32_e32 v4, 31, v4
	;; [unrolled: 9-line block ×6, first 2 shown]
	v_xor_b32_e32 v5, vcc_hi, v4
	v_xor_b32_e32 v4, vcc_lo, v4
	v_and_b32_e32 v4, v66, v4
	v_and_b32_e32 v5, v0, v5
	v_mbcnt_lo_u32_b32 v0, v4, 0
	v_mbcnt_hi_u32_b32 v64, v5, v0
	v_cmp_eq_u32_e32 vcc, 0, v64
	v_cmp_ne_u64_e64 s[0:1], 0, v[4:5]
	s_and_b64 s[4:5], s[0:1], vcc
	v_add_u32_e32 v66, v31, v65
	; wave barrier
	s_and_saveexec_b64 s[0:1], s[4:5]
	s_cbranch_execz .LBB25_245
; %bb.244:
	v_bcnt_u32_b32 v0, v4, 0
	v_bcnt_u32_b32 v0, v5, v0
	s_waitcnt lgkmcnt(0)
	v_add_u32_e32 v0, v62, v0
	ds_write_b32 v66, v0 offset:16
.LBB25_245:
	s_or_b64 exec, exec, s[0:1]
	s_waitcnt vmcnt(4)
	v_lshrrev_b32_sdwa v0, s88, v11 dst_sel:DWORD dst_unused:UNUSED_PAD src0_sel:DWORD src1_sel:WORD_0
	v_and_b32_e32 v67, s9, v0
	v_mad_u32_u24 v0, v67, 20, v31
	; wave barrier
	ds_read_b32 v65, v0 offset:16
	v_and_b32_e32 v0, 1, v67
	v_lshl_add_u64 v[4:5], v[0:1], 0, -1
	v_cmp_ne_u32_e32 vcc, 0, v0
	v_mul_u32_u24_e32 v68, 20, v67
	s_nop 0
	v_xor_b32_e32 v4, vcc_lo, v4
	v_xor_b32_e32 v0, vcc_hi, v5
	v_and_b32_e32 v69, exec_lo, v4
	v_lshlrev_b32_e32 v5, 30, v67
	v_mov_b32_e32 v4, v1
	v_cmp_gt_i64_e32 vcc, 0, v[4:5]
	v_not_b32_e32 v4, v5
	v_ashrrev_i32_e32 v4, 31, v4
	v_and_b32_e32 v0, exec_hi, v0
	v_xor_b32_e32 v5, vcc_hi, v4
	v_xor_b32_e32 v4, vcc_lo, v4
	v_and_b32_e32 v0, v0, v5
	v_and_b32_e32 v69, v69, v4
	v_lshlrev_b32_e32 v5, 29, v67
	v_mov_b32_e32 v4, v1
	v_cmp_gt_i64_e32 vcc, 0, v[4:5]
	v_not_b32_e32 v4, v5
	v_ashrrev_i32_e32 v4, 31, v4
	v_xor_b32_e32 v5, vcc_hi, v4
	v_xor_b32_e32 v4, vcc_lo, v4
	v_and_b32_e32 v0, v0, v5
	v_and_b32_e32 v69, v69, v4
	v_lshlrev_b32_e32 v5, 28, v67
	v_mov_b32_e32 v4, v1
	v_cmp_gt_i64_e32 vcc, 0, v[4:5]
	v_not_b32_e32 v4, v5
	v_ashrrev_i32_e32 v4, 31, v4
	;; [unrolled: 9-line block ×5, first 2 shown]
	v_xor_b32_e32 v5, vcc_hi, v4
	v_xor_b32_e32 v4, vcc_lo, v4
	v_and_b32_e32 v0, v0, v5
	v_lshlrev_b32_e32 v5, 24, v67
	v_and_b32_e32 v69, v69, v4
	v_mov_b32_e32 v4, v1
	v_not_b32_e32 v1, v5
	v_cmp_gt_i64_e32 vcc, 0, v[4:5]
	v_ashrrev_i32_e32 v1, 31, v1
	; wave barrier
	s_nop 0
	v_xor_b32_e32 v4, vcc_hi, v1
	v_xor_b32_e32 v5, vcc_lo, v1
	v_and_b32_e32 v1, v0, v4
	v_and_b32_e32 v0, v69, v5
	v_mbcnt_lo_u32_b32 v4, v0, 0
	v_mbcnt_hi_u32_b32 v67, v1, v4
	v_cmp_eq_u32_e32 vcc, 0, v67
	v_cmp_ne_u64_e64 s[0:1], 0, v[0:1]
	s_and_b64 s[4:5], s[0:1], vcc
	v_add_u32_e32 v69, v31, v68
	s_and_saveexec_b64 s[0:1], s[4:5]
	s_cbranch_execz .LBB25_247
; %bb.246:
	v_bcnt_u32_b32 v0, v0, 0
	v_bcnt_u32_b32 v0, v1, v0
	s_waitcnt lgkmcnt(0)
	v_add_u32_e32 v0, v65, v0
	ds_write_b32 v69, v0 offset:16
.LBB25_247:
	s_or_b64 exec, exec, s[0:1]
	s_waitcnt vmcnt(3)
	v_lshrrev_b32_sdwa v0, s88, v10 dst_sel:DWORD dst_unused:UNUSED_PAD src0_sel:DWORD src1_sel:WORD_0
	v_and_b32_e32 v70, s9, v0
	v_mad_u32_u24 v0, v70, 20, v31
	; wave barrier
	ds_read_b32 v68, v0 offset:16
	v_and_b32_e32 v0, 1, v70
	v_mov_b32_e32 v1, 0
	v_lshl_add_u64 v[4:5], v[0:1], 0, -1
	v_cmp_ne_u32_e32 vcc, 0, v0
	v_mul_u32_u24_e32 v71, 20, v70
	s_nop 0
	v_xor_b32_e32 v4, vcc_lo, v4
	v_xor_b32_e32 v0, vcc_hi, v5
	v_and_b32_e32 v72, exec_lo, v4
	v_lshlrev_b32_e32 v5, 30, v70
	v_mov_b32_e32 v4, v1
	v_cmp_gt_i64_e32 vcc, 0, v[4:5]
	v_not_b32_e32 v4, v5
	v_ashrrev_i32_e32 v4, 31, v4
	v_and_b32_e32 v0, exec_hi, v0
	v_xor_b32_e32 v5, vcc_hi, v4
	v_xor_b32_e32 v4, vcc_lo, v4
	v_and_b32_e32 v0, v0, v5
	v_and_b32_e32 v72, v72, v4
	v_lshlrev_b32_e32 v5, 29, v70
	v_mov_b32_e32 v4, v1
	v_cmp_gt_i64_e32 vcc, 0, v[4:5]
	v_not_b32_e32 v4, v5
	v_ashrrev_i32_e32 v4, 31, v4
	v_xor_b32_e32 v5, vcc_hi, v4
	v_xor_b32_e32 v4, vcc_lo, v4
	v_and_b32_e32 v0, v0, v5
	v_and_b32_e32 v72, v72, v4
	v_lshlrev_b32_e32 v5, 28, v70
	v_mov_b32_e32 v4, v1
	v_cmp_gt_i64_e32 vcc, 0, v[4:5]
	v_not_b32_e32 v4, v5
	v_ashrrev_i32_e32 v4, 31, v4
	;; [unrolled: 9-line block ×6, first 2 shown]
	v_xor_b32_e32 v5, vcc_hi, v4
	v_xor_b32_e32 v4, vcc_lo, v4
	v_and_b32_e32 v4, v72, v4
	v_and_b32_e32 v5, v0, v5
	v_mbcnt_lo_u32_b32 v0, v4, 0
	v_mbcnt_hi_u32_b32 v70, v5, v0
	v_cmp_eq_u32_e32 vcc, 0, v70
	v_cmp_ne_u64_e64 s[0:1], 0, v[4:5]
	s_and_b64 s[4:5], s[0:1], vcc
	v_add_u32_e32 v72, v31, v71
	; wave barrier
	s_and_saveexec_b64 s[0:1], s[4:5]
	s_cbranch_execz .LBB25_249
; %bb.248:
	v_bcnt_u32_b32 v0, v4, 0
	v_bcnt_u32_b32 v0, v5, v0
	s_waitcnt lgkmcnt(0)
	v_add_u32_e32 v0, v68, v0
	ds_write_b32 v72, v0 offset:16
.LBB25_249:
	s_or_b64 exec, exec, s[0:1]
	s_waitcnt vmcnt(2)
	v_lshrrev_b32_sdwa v0, s88, v9 dst_sel:DWORD dst_unused:UNUSED_PAD src0_sel:DWORD src1_sel:WORD_0
	v_and_b32_e32 v73, s9, v0
	v_mad_u32_u24 v0, v73, 20, v31
	; wave barrier
	ds_read_b32 v71, v0 offset:16
	v_and_b32_e32 v0, 1, v73
	v_lshl_add_u64 v[4:5], v[0:1], 0, -1
	v_cmp_ne_u32_e32 vcc, 0, v0
	v_mul_u32_u24_e32 v74, 20, v73
	s_nop 0
	v_xor_b32_e32 v4, vcc_lo, v4
	v_xor_b32_e32 v0, vcc_hi, v5
	v_and_b32_e32 v75, exec_lo, v4
	v_lshlrev_b32_e32 v5, 30, v73
	v_mov_b32_e32 v4, v1
	v_cmp_gt_i64_e32 vcc, 0, v[4:5]
	v_not_b32_e32 v4, v5
	v_ashrrev_i32_e32 v4, 31, v4
	v_and_b32_e32 v0, exec_hi, v0
	v_xor_b32_e32 v5, vcc_hi, v4
	v_xor_b32_e32 v4, vcc_lo, v4
	v_and_b32_e32 v0, v0, v5
	v_and_b32_e32 v75, v75, v4
	v_lshlrev_b32_e32 v5, 29, v73
	v_mov_b32_e32 v4, v1
	v_cmp_gt_i64_e32 vcc, 0, v[4:5]
	v_not_b32_e32 v4, v5
	v_ashrrev_i32_e32 v4, 31, v4
	v_xor_b32_e32 v5, vcc_hi, v4
	v_xor_b32_e32 v4, vcc_lo, v4
	v_and_b32_e32 v0, v0, v5
	v_and_b32_e32 v75, v75, v4
	v_lshlrev_b32_e32 v5, 28, v73
	v_mov_b32_e32 v4, v1
	v_cmp_gt_i64_e32 vcc, 0, v[4:5]
	v_not_b32_e32 v4, v5
	v_ashrrev_i32_e32 v4, 31, v4
	;; [unrolled: 9-line block ×5, first 2 shown]
	v_xor_b32_e32 v5, vcc_hi, v4
	v_xor_b32_e32 v4, vcc_lo, v4
	v_and_b32_e32 v0, v0, v5
	v_lshlrev_b32_e32 v5, 24, v73
	v_and_b32_e32 v75, v75, v4
	v_mov_b32_e32 v4, v1
	v_not_b32_e32 v1, v5
	v_cmp_gt_i64_e32 vcc, 0, v[4:5]
	v_ashrrev_i32_e32 v1, 31, v1
	; wave barrier
	s_nop 0
	v_xor_b32_e32 v4, vcc_hi, v1
	v_xor_b32_e32 v5, vcc_lo, v1
	v_and_b32_e32 v1, v0, v4
	v_and_b32_e32 v0, v75, v5
	v_mbcnt_lo_u32_b32 v4, v0, 0
	v_mbcnt_hi_u32_b32 v73, v1, v4
	v_cmp_eq_u32_e32 vcc, 0, v73
	v_cmp_ne_u64_e64 s[0:1], 0, v[0:1]
	s_and_b64 s[4:5], s[0:1], vcc
	v_add_u32_e32 v75, v31, v74
	s_and_saveexec_b64 s[0:1], s[4:5]
	s_cbranch_execz .LBB25_251
; %bb.250:
	v_bcnt_u32_b32 v0, v0, 0
	v_bcnt_u32_b32 v0, v1, v0
	s_waitcnt lgkmcnt(0)
	v_add_u32_e32 v0, v71, v0
	ds_write_b32 v75, v0 offset:16
.LBB25_251:
	s_or_b64 exec, exec, s[0:1]
	s_waitcnt vmcnt(1)
	v_lshrrev_b32_sdwa v0, s88, v8 dst_sel:DWORD dst_unused:UNUSED_PAD src0_sel:DWORD src1_sel:WORD_0
	v_and_b32_e32 v76, s9, v0
	v_mad_u32_u24 v0, v76, 20, v31
	; wave barrier
	ds_read_b32 v74, v0 offset:16
	v_and_b32_e32 v0, 1, v76
	v_mov_b32_e32 v1, 0
	v_lshl_add_u64 v[4:5], v[0:1], 0, -1
	v_cmp_ne_u32_e32 vcc, 0, v0
	v_mul_u32_u24_e32 v77, 20, v76
	s_nop 0
	v_xor_b32_e32 v4, vcc_lo, v4
	v_xor_b32_e32 v0, vcc_hi, v5
	v_and_b32_e32 v78, exec_lo, v4
	v_lshlrev_b32_e32 v5, 30, v76
	v_mov_b32_e32 v4, v1
	v_cmp_gt_i64_e32 vcc, 0, v[4:5]
	v_not_b32_e32 v4, v5
	v_ashrrev_i32_e32 v4, 31, v4
	v_and_b32_e32 v0, exec_hi, v0
	v_xor_b32_e32 v5, vcc_hi, v4
	v_xor_b32_e32 v4, vcc_lo, v4
	v_and_b32_e32 v0, v0, v5
	v_and_b32_e32 v78, v78, v4
	v_lshlrev_b32_e32 v5, 29, v76
	v_mov_b32_e32 v4, v1
	v_cmp_gt_i64_e32 vcc, 0, v[4:5]
	v_not_b32_e32 v4, v5
	v_ashrrev_i32_e32 v4, 31, v4
	v_xor_b32_e32 v5, vcc_hi, v4
	v_xor_b32_e32 v4, vcc_lo, v4
	v_and_b32_e32 v0, v0, v5
	v_and_b32_e32 v78, v78, v4
	v_lshlrev_b32_e32 v5, 28, v76
	v_mov_b32_e32 v4, v1
	v_cmp_gt_i64_e32 vcc, 0, v[4:5]
	v_not_b32_e32 v4, v5
	v_ashrrev_i32_e32 v4, 31, v4
	;; [unrolled: 9-line block ×6, first 2 shown]
	v_xor_b32_e32 v5, vcc_hi, v4
	v_xor_b32_e32 v4, vcc_lo, v4
	v_and_b32_e32 v4, v78, v4
	v_and_b32_e32 v5, v0, v5
	v_mbcnt_lo_u32_b32 v0, v4, 0
	v_mbcnt_hi_u32_b32 v76, v5, v0
	v_cmp_eq_u32_e32 vcc, 0, v76
	v_cmp_ne_u64_e64 s[0:1], 0, v[4:5]
	s_and_b64 s[4:5], s[0:1], vcc
	v_add_u32_e32 v78, v31, v77
	; wave barrier
	s_and_saveexec_b64 s[0:1], s[4:5]
	s_cbranch_execz .LBB25_253
; %bb.252:
	v_bcnt_u32_b32 v0, v4, 0
	v_bcnt_u32_b32 v0, v5, v0
	s_waitcnt lgkmcnt(0)
	v_add_u32_e32 v0, v74, v0
	ds_write_b32 v78, v0 offset:16
.LBB25_253:
	s_or_b64 exec, exec, s[0:1]
	s_waitcnt vmcnt(0)
	v_lshrrev_b32_sdwa v0, s88, v7 dst_sel:DWORD dst_unused:UNUSED_PAD src0_sel:DWORD src1_sel:WORD_0
	v_and_b32_e32 v79, s9, v0
	v_mad_u32_u24 v0, v79, 20, v31
	; wave barrier
	ds_read_b32 v77, v0 offset:16
	v_and_b32_e32 v0, 1, v79
	v_lshl_add_u64 v[4:5], v[0:1], 0, -1
	v_cmp_ne_u32_e32 vcc, 0, v0
	v_mul_u32_u24_e32 v80, 20, v79
	v_add_u32_e32 v31, v31, v80
	v_xor_b32_e32 v4, vcc_lo, v4
	v_xor_b32_e32 v0, vcc_hi, v5
	v_and_b32_e32 v81, exec_lo, v4
	v_lshlrev_b32_e32 v5, 30, v79
	v_mov_b32_e32 v4, v1
	v_cmp_gt_i64_e32 vcc, 0, v[4:5]
	v_not_b32_e32 v4, v5
	v_ashrrev_i32_e32 v4, 31, v4
	v_and_b32_e32 v0, exec_hi, v0
	v_xor_b32_e32 v5, vcc_hi, v4
	v_xor_b32_e32 v4, vcc_lo, v4
	v_and_b32_e32 v0, v0, v5
	v_and_b32_e32 v81, v81, v4
	v_lshlrev_b32_e32 v5, 29, v79
	v_mov_b32_e32 v4, v1
	v_cmp_gt_i64_e32 vcc, 0, v[4:5]
	v_not_b32_e32 v4, v5
	v_ashrrev_i32_e32 v4, 31, v4
	v_xor_b32_e32 v5, vcc_hi, v4
	v_xor_b32_e32 v4, vcc_lo, v4
	v_and_b32_e32 v0, v0, v5
	v_and_b32_e32 v81, v81, v4
	v_lshlrev_b32_e32 v5, 28, v79
	v_mov_b32_e32 v4, v1
	v_cmp_gt_i64_e32 vcc, 0, v[4:5]
	v_not_b32_e32 v4, v5
	v_ashrrev_i32_e32 v4, 31, v4
	;; [unrolled: 9-line block ×5, first 2 shown]
	v_xor_b32_e32 v5, vcc_hi, v4
	v_xor_b32_e32 v4, vcc_lo, v4
	v_and_b32_e32 v0, v0, v5
	v_lshlrev_b32_e32 v5, 24, v79
	v_and_b32_e32 v81, v81, v4
	v_mov_b32_e32 v4, v1
	v_not_b32_e32 v1, v5
	v_cmp_gt_i64_e32 vcc, 0, v[4:5]
	v_ashrrev_i32_e32 v1, 31, v1
	s_nop 0
	v_xor_b32_e32 v4, vcc_hi, v1
	v_xor_b32_e32 v5, vcc_lo, v1
	v_and_b32_e32 v1, v0, v4
	v_and_b32_e32 v0, v81, v5
	v_mbcnt_lo_u32_b32 v4, v0, 0
	v_mbcnt_hi_u32_b32 v79, v1, v4
	v_cmp_eq_u32_e32 vcc, 0, v79
	v_cmp_ne_u64_e64 s[0:1], 0, v[0:1]
	s_and_b64 s[4:5], s[0:1], vcc
	; wave barrier
	s_and_saveexec_b64 s[0:1], s[4:5]
	s_cbranch_execz .LBB25_255
; %bb.254:
	v_bcnt_u32_b32 v0, v0, 0
	v_bcnt_u32_b32 v0, v1, v0
	s_waitcnt lgkmcnt(0)
	v_add_u32_e32 v0, v77, v0
	ds_write_b32 v31, v0 offset:16
.LBB25_255:
	s_or_b64 exec, exec, s[0:1]
	; wave barrier
	s_waitcnt lgkmcnt(0)
	s_barrier
	ds_read2_b32 v[4:5], v18 offset0:4 offset1:5
	ds_read2_b32 v[0:1], v18 offset0:6 offset1:7
	ds_read_b32 v80, v18 offset:32
	v_min_u32_e32 v26, 0xc0, v26
	v_or_b32_e32 v26, 63, v26
	s_waitcnt lgkmcnt(1)
	v_add3_u32 v81, v5, v4, v0
	s_waitcnt lgkmcnt(0)
	v_add3_u32 v80, v81, v1, v80
	v_and_b32_e32 v81, 15, v12
	v_cmp_ne_u32_e32 vcc, 0, v81
	v_mov_b32_dpp v82, v80 row_shr:1 row_mask:0xf bank_mask:0xf
	s_nop 0
	v_cndmask_b32_e32 v82, 0, v82, vcc
	v_add_u32_e32 v80, v82, v80
	v_cmp_lt_u32_e32 vcc, 1, v81
	s_nop 0
	v_mov_b32_dpp v82, v80 row_shr:2 row_mask:0xf bank_mask:0xf
	v_cndmask_b32_e32 v82, 0, v82, vcc
	v_add_u32_e32 v80, v80, v82
	v_cmp_lt_u32_e32 vcc, 3, v81
	s_nop 0
	v_mov_b32_dpp v82, v80 row_shr:4 row_mask:0xf bank_mask:0xf
	;; [unrolled: 5-line block ×3, first 2 shown]
	v_cndmask_b32_e32 v81, 0, v82, vcc
	v_add_u32_e32 v80, v80, v81
	v_bfe_i32 v82, v12, 4, 1
	v_cmp_lt_u32_e32 vcc, 31, v12
	v_mov_b32_dpp v81, v80 row_bcast:15 row_mask:0xf bank_mask:0xf
	v_and_b32_e32 v81, v82, v81
	v_add_u32_e32 v80, v80, v81
	s_nop 1
	v_mov_b32_dpp v81, v80 row_bcast:31 row_mask:0xf bank_mask:0xf
	v_cndmask_b32_e32 v81, 0, v81, vcc
	v_add_u32_e32 v80, v80, v81
	v_lshrrev_b32_e32 v81, 6, v2
	v_cmp_eq_u32_e32 vcc, v2, v26
	s_and_saveexec_b64 s[0:1], vcc
; %bb.256:
	v_lshlrev_b32_e32 v26, 2, v81
	ds_write_b32 v26, v80
; %bb.257:
	s_or_b64 exec, exec, s[0:1]
	v_cmp_gt_u32_e32 vcc, 4, v2
	s_waitcnt lgkmcnt(0)
	s_barrier
	s_and_saveexec_b64 s[0:1], vcc
	s_cbranch_execz .LBB25_259
; %bb.258:
	v_lshlrev_b32_e32 v26, 2, v2
	ds_read_b32 v82, v26
	v_and_b32_e32 v83, 3, v12
	v_cmp_ne_u32_e32 vcc, 0, v83
	s_waitcnt lgkmcnt(0)
	v_mov_b32_dpp v84, v82 row_shr:1 row_mask:0xf bank_mask:0xf
	v_cndmask_b32_e32 v84, 0, v84, vcc
	v_add_u32_e32 v82, v84, v82
	v_cmp_lt_u32_e32 vcc, 1, v83
	s_nop 0
	v_mov_b32_dpp v84, v82 row_shr:2 row_mask:0xf bank_mask:0xf
	v_cndmask_b32_e32 v83, 0, v84, vcc
	v_add_u32_e32 v82, v82, v83
	ds_write_b32 v26, v82
.LBB25_259:
	s_or_b64 exec, exec, s[0:1]
	v_cmp_lt_u32_e32 vcc, 63, v2
	v_mov_b32_e32 v26, 0
	s_waitcnt lgkmcnt(0)
	s_barrier
	s_and_saveexec_b64 s[0:1], vcc
; %bb.260:
	v_lshl_add_u32 v26, v81, 2, -4
	ds_read_b32 v26, v26
; %bb.261:
	s_or_b64 exec, exec, s[0:1]
	v_add_u32_e32 v81, -1, v12
	v_and_b32_e32 v82, 64, v12
	v_cmp_lt_i32_e32 vcc, v81, v82
	s_waitcnt lgkmcnt(0)
	v_add_u32_e32 v80, v26, v80
	s_movk_i32 s0, 0x100
	v_cndmask_b32_e32 v81, v81, v12, vcc
	v_lshlrev_b32_e32 v81, 2, v81
	ds_bpermute_b32 v80, v81, v80
	v_cmp_eq_u32_e32 vcc, 0, v12
	s_waitcnt lgkmcnt(0)
	s_nop 0
	v_cndmask_b32_e32 v26, v80, v26, vcc
	v_cmp_ne_u32_e32 vcc, 0, v2
	s_nop 1
	v_cndmask_b32_e32 v26, 0, v26, vcc
	v_add_u32_e32 v4, v26, v4
	v_add_u32_e32 v5, v4, v5
	;; [unrolled: 1-line block ×4, first 2 shown]
	ds_write2_b32 v18, v26, v4 offset0:4 offset1:5
	ds_write2_b32 v18, v5, v0 offset0:6 offset1:7
	ds_write_b32 v18, v1 offset:32
	s_waitcnt lgkmcnt(0)
	s_barrier
	ds_read_b32 v4, v29 offset:16
	ds_read_b32 v5, v33 offset:16
	;; [unrolled: 1-line block ×19, first 2 shown]
	v_add_u32_e32 v18, 1, v2
	v_cmp_ne_u32_e32 vcc, s0, v18
	v_mov_b32_e32 v1, 0x1200
	s_and_saveexec_b64 s[0:1], vcc
; %bb.262:
	v_mul_u32_u24_e32 v1, 20, v18
	ds_read_b32 v1, v1 offset:16
; %bb.263:
	s_or_b64 exec, exec, s[0:1]
	s_waitcnt lgkmcnt(14)
	v_add_u32_e32 v48, v4, v27
	v_add3_u32 v45, v30, v28, v5
	v_lshlrev_b32_e32 v4, 1, v48
	v_add3_u32 v42, v34, v32, v26
	s_waitcnt lgkmcnt(0)
	s_barrier
	ds_write_b16 v4, v6 offset:2048
	v_lshlrev_b32_e32 v4, 1, v45
	v_add3_u32 v39, v37, v35, v29
	ds_write_b16 v4, v25 offset:2048
	v_lshlrev_b32_e32 v4, 1, v42
	v_add3_u32 v37, v40, v38, v33
	;; [unrolled: 3-line block ×15, first 2 shown]
	ds_write_b16 v4, v9 offset:2048
	v_lshlrev_b32_e32 v4, 1, v18
	ds_write_b16 v4, v8 offset:2048
	v_lshlrev_b32_e32 v4, 1, v5
	ds_write_b16 v4, v7 offset:2048
	v_sub_u32_e32 v4, v1, v0
	v_lshl_add_u32 v6, s2, 8, v2
	v_mov_b32_e32 v7, 0
	v_lshl_add_u64 v[8:9], v[6:7], 2, s[94:95]
	v_or_b32_e32 v1, 2.0, v4
	s_mov_b64 s[0:1], 0
	s_brev_b32 s10, -4
	v_mov_b32_e32 v13, 0
	s_waitcnt lgkmcnt(0)
	s_barrier
	global_store_dword v[8:9], v1, off sc1
                                        ; implicit-def: $sgpr4_sgpr5
	s_branch .LBB25_266
.LBB25_264:                             ;   in Loop: Header=BB25_266 Depth=1
	s_or_b64 exec, exec, s[6:7]
.LBB25_265:                             ;   in Loop: Header=BB25_266 Depth=1
	s_or_b64 exec, exec, s[4:5]
	v_and_b32_e32 v6, 0x3fffffff, v1
	v_add_u32_e32 v13, v6, v13
	v_cmp_gt_i32_e64 s[4:5], -2.0, v1
	s_and_b64 s[6:7], exec, s[4:5]
	s_or_b64 s[0:1], s[6:7], s[0:1]
	s_andn2_b64 exec, exec, s[0:1]
	s_cbranch_execz .LBB25_271
.LBB25_266:                             ; =>This Loop Header: Depth=1
                                        ;     Child Loop BB25_269 Depth 2
	s_or_b64 s[4:5], s[4:5], exec
	s_cmp_eq_u32 s3, 0
	s_cbranch_scc1 .LBB25_270
; %bb.267:                              ;   in Loop: Header=BB25_266 Depth=1
	s_add_i32 s3, s3, -1
	v_lshl_add_u32 v6, s3, 8, v2
	v_lshl_add_u64 v[10:11], v[6:7], 2, s[94:95]
	global_load_dword v1, v[10:11], off sc1
	s_waitcnt vmcnt(0)
	v_cmp_gt_u32_e32 vcc, 2.0, v1
	s_and_saveexec_b64 s[4:5], vcc
	s_cbranch_execz .LBB25_265
; %bb.268:                              ;   in Loop: Header=BB25_266 Depth=1
	s_mov_b64 s[6:7], 0
.LBB25_269:                             ;   Parent Loop BB25_266 Depth=1
                                        ; =>  This Inner Loop Header: Depth=2
	global_load_dword v1, v[10:11], off sc1
	s_waitcnt vmcnt(0)
	v_cmp_lt_u32_e32 vcc, s10, v1
	s_or_b64 s[6:7], vcc, s[6:7]
	s_andn2_b64 exec, exec, s[6:7]
	s_cbranch_execnz .LBB25_269
	s_branch .LBB25_264
.LBB25_270:                             ;   in Loop: Header=BB25_266 Depth=1
                                        ; implicit-def: $sgpr3
	s_and_b64 s[6:7], exec, s[4:5]
	s_or_b64 s[0:1], s[6:7], s[0:1]
	s_andn2_b64 exec, exec, s[0:1]
	s_cbranch_execnz .LBB25_266
.LBB25_271:
	s_or_b64 exec, exec, s[0:1]
	v_add_u32_e32 v1, v13, v4
	v_or_b32_e32 v1, 0x80000000, v1
	v_lshlrev_b32_e32 v6, 3, v2
	global_store_dword v[8:9], v1, off sc1
	global_load_dwordx2 v[8:9], v6, s[84:85]
	v_sub_co_u32_e32 v10, vcc, v13, v0
	v_mad_i32_i24 v13, v2, -6, v6
	s_nop 0
	v_subb_co_u32_e64 v11, s[0:1], 0, 0, vcc
	v_mov_b32_e32 v1, 0
	v_lshlrev_b32_e32 v14, 1, v2
	v_mov_b32_e32 v15, v1
	v_add_u32_e32 v93, 0xb00, v2
	s_lshl_b64 s[0:1], s[92:93], 3
	s_add_u32 s0, s80, s0
	s_addc_u32 s1, s81, s1
	v_lshlrev_b32_e32 v12, 3, v12
	s_movk_i32 s3, 0x1000
	v_or_b32_e32 v94, 0xc00, v2
	v_add_u32_e32 v95, 0xd00, v2
	v_lshlrev_b32_e32 v66, 1, v95
	v_mov_b32_e32 v67, v1
	v_add_u32_e32 v96, 0xe00, v2
	v_lshlrev_b32_e32 v74, 1, v96
	v_mov_b32_e32 v75, v1
	v_mov_b32_e32 v7, v1
	s_add_i32 s8, s8, -1
	s_cmp_lg_u32 s2, s8
	s_waitcnt vmcnt(0)
	v_lshl_add_u64 v[8:9], v[10:11], 0, v[8:9]
	ds_write_b64 v6, v[8:9]
	s_waitcnt lgkmcnt(0)
	s_barrier
	ds_read_u16 v19, v13 offset:2048
	ds_read_u16 v38, v13 offset:2560
	;; [unrolled: 1-line block ×16, first 2 shown]
	s_waitcnt lgkmcnt(14)
	v_lshrrev_b32_sdwa v8, s88, v19 dst_sel:DWORD dst_unused:UNUSED_PAD src0_sel:DWORD src1_sel:WORD_0
	v_lshrrev_b32_sdwa v9, s88, v38 dst_sel:DWORD dst_unused:UNUSED_PAD src0_sel:DWORD src1_sel:WORD_0
	s_waitcnt lgkmcnt(13)
	v_lshrrev_b32_sdwa v10, s88, v43 dst_sel:DWORD dst_unused:UNUSED_PAD src0_sel:DWORD src1_sel:WORD_0
	s_waitcnt lgkmcnt(12)
	;; [unrolled: 2-line block ×8, first 2 shown]
	v_lshrrev_b32_sdwa v23, s88, v58 dst_sel:DWORD dst_unused:UNUSED_PAD src0_sel:DWORD src1_sel:WORD_0
	v_and_b32_e32 v8, s9, v8
	v_and_b32_e32 v9, s9, v9
	;; [unrolled: 1-line block ×10, first 2 shown]
	v_lshlrev_b32_e32 v78, 3, v8
	v_lshlrev_b32_e32 v79, 3, v9
	;; [unrolled: 1-line block ×10, first 2 shown]
	ds_read_b64 v[8:9], v78
	ds_read_b64 v[10:11], v79
	;; [unrolled: 1-line block ×10, first 2 shown]
	ds_read_u16 v88, v13 offset:10240
	ds_read_u16 v89, v13 offset:10752
	s_waitcnt lgkmcnt(11)
	v_lshl_add_u64 v[8:9], v[8:9], 1, s[78:79]
	s_waitcnt lgkmcnt(10)
	v_lshl_add_u64 v[10:11], v[10:11], 1, s[78:79]
	;; [unrolled: 2-line block ×8, first 2 shown]
	v_lshl_add_u64 v[8:9], v[8:9], 0, v[14:15]
	v_lshl_add_u64 v[10:11], v[10:11], 0, v[14:15]
	;; [unrolled: 1-line block ×8, first 2 shown]
	global_store_short v[8:9], v19, off
	global_store_short v[10:11], v38, off offset:512
	global_store_short v[16:17], v43, off offset:1024
	;; [unrolled: 1-line block ×7, first 2 shown]
	v_or_b32_e32 v38, 0x800, v2
	s_waitcnt lgkmcnt(3)
	v_lshl_add_u64 v[8:9], v[50:51], 1, s[78:79]
	v_lshlrev_b32_e32 v10, 1, v38
	v_mov_b32_e32 v11, v1
	v_lshl_add_u64 v[8:9], v[8:9], 0, v[10:11]
	v_add_u32_e32 v43, 0x900, v2
	global_store_short v[8:9], v57, off
	s_waitcnt lgkmcnt(2)
	v_lshl_add_u64 v[8:9], v[52:53], 1, s[78:79]
	v_lshlrev_b32_e32 v10, 1, v43
	v_lshl_add_u64 v[8:9], v[8:9], 0, v[10:11]
	global_store_short v[8:9], v58, off
	v_lshrrev_b32_sdwa v8, s88, v59 dst_sel:DWORD dst_unused:UNUSED_PAD src0_sel:DWORD src1_sel:WORD_0
	v_and_b32_e32 v8, s9, v8
	v_lshrrev_b32_sdwa v10, s88, v60 dst_sel:DWORD dst_unused:UNUSED_PAD src0_sel:DWORD src1_sel:WORD_0
	v_lshlrev_b32_e32 v49, 3, v8
	v_and_b32_e32 v10, s9, v10
	ds_read_b64 v[8:9], v49
	v_lshlrev_b32_e32 v90, 3, v10
	v_lshrrev_b32_sdwa v10, s88, v62 dst_sel:DWORD dst_unused:UNUSED_PAD src0_sel:DWORD src1_sel:WORD_0
	v_and_b32_e32 v10, s9, v10
	v_lshlrev_b32_e32 v91, 3, v10
	v_lshrrev_b32_sdwa v10, s88, v70 dst_sel:DWORD dst_unused:UNUSED_PAD src0_sel:DWORD src1_sel:WORD_0
	v_and_b32_e32 v10, s9, v10
	v_add_u32_e32 v44, 0xa00, v2
	v_lshlrev_b32_e32 v92, 3, v10
	ds_read_b64 v[10:11], v90
	ds_read_b64 v[14:15], v91
	;; [unrolled: 1-line block ×3, first 2 shown]
	s_waitcnt lgkmcnt(3)
	v_lshl_add_u64 v[8:9], v[8:9], 1, s[78:79]
	v_lshlrev_b32_e32 v20, 1, v44
	v_mov_b32_e32 v21, v1
	v_lshl_add_u64 v[8:9], v[8:9], 0, v[20:21]
	global_store_short v[8:9], v59, off
	s_waitcnt lgkmcnt(2)
	v_lshl_add_u64 v[8:9], v[10:11], 1, s[78:79]
	v_lshlrev_b32_e32 v10, 1, v93
	v_mov_b32_e32 v11, v1
	v_lshl_add_u64 v[8:9], v[8:9], 0, v[10:11]
	v_mov_b32_e32 v13, v1
	global_store_short v[8:9], v60, off
	s_waitcnt lgkmcnt(1)
	v_lshl_add_u64 v[8:9], v[14:15], 1, s[78:79]
	v_lshl_add_u64 v[12:13], s[0:1], 0, v[12:13]
	v_lshlrev_b32_e32 v14, 3, v3
	v_mov_b32_e32 v15, v1
	v_lshl_add_u64 v[12:13], v[12:13], 0, v[14:15]
	s_movk_i32 s0, 0x2000
	v_add_co_u32_e32 v54, vcc, s0, v12
	global_load_dwordx2 v[14:15], v[12:13], off
	global_load_dwordx2 v[20:21], v[12:13], off offset:512
	global_load_dwordx2 v[22:23], v[12:13], off offset:1024
	;; [unrolled: 1-line block ×7, first 2 shown]
	v_addc_co_u32_e32 v55, vcc, 0, v13, vcc
	global_load_dwordx2 v[56:57], v[54:55], off offset:-4096
	v_add_co_u32_e32 v12, vcc, s3, v12
	v_lshlrev_b32_e32 v10, 1, v94
	s_nop 0
	v_addc_co_u32_e32 v13, vcc, 0, v13, vcc
	global_load_dwordx2 v[58:59], v[12:13], off offset:512
	global_load_dwordx2 v[60:61], v[12:13], off offset:1024
	v_lshl_add_u64 v[8:9], v[8:9], 0, v[10:11]
	global_load_dwordx2 v[10:11], v[12:13], off offset:1536
	global_load_dwordx2 v[64:65], v[12:13], off offset:3072
	global_load_dwordx2 v[68:69], v[54:55], off
	v_lshrrev_b32_sdwa v3, s88, v76 dst_sel:DWORD dst_unused:UNUSED_PAD src0_sel:DWORD src1_sel:WORD_0
	global_store_short v[8:9], v62, off
	global_load_dwordx2 v[8:9], v[12:13], off offset:2048
	v_and_b32_e32 v3, s9, v3
	global_load_dwordx2 v[62:63], v[12:13], off offset:2560
	s_waitcnt lgkmcnt(0)
	v_lshl_add_u64 v[16:17], v[16:17], 1, s[78:79]
	global_load_dwordx2 v[12:13], v[12:13], off offset:3584
	v_lshlrev_b32_e32 v97, 3, v3
	global_load_dwordx2 v[54:55], v[54:55], off offset:512
	v_lshrrev_b32_sdwa v3, s88, v77 dst_sel:DWORD dst_unused:UNUSED_PAD src0_sel:DWORD src1_sel:WORD_0
	v_lshl_add_u64 v[16:17], v[16:17], 0, v[66:67]
	v_and_b32_e32 v3, s9, v3
	global_store_short v[16:17], v70, off
	ds_read_b64 v[16:17], v97
	v_lshlrev_b32_e32 v98, 3, v3
	v_lshrrev_b32_sdwa v3, s88, v88 dst_sel:DWORD dst_unused:UNUSED_PAD src0_sel:DWORD src1_sel:WORD_0
	v_and_b32_e32 v3, s9, v3
	v_lshlrev_b32_e32 v99, 3, v3
	v_lshrrev_b32_sdwa v3, s88, v89 dst_sel:DWORD dst_unused:UNUSED_PAD src0_sel:DWORD src1_sel:WORD_0
	v_and_b32_e32 v3, s9, v3
	v_lshlrev_b32_e32 v100, 3, v3
	ds_read_b64 v[66:67], v98
	ds_read_b64 v[70:71], v99
	;; [unrolled: 1-line block ×3, first 2 shown]
	s_waitcnt lgkmcnt(3)
	v_lshl_add_u64 v[16:17], v[16:17], 1, s[78:79]
	v_lshl_add_u64 v[16:17], v[16:17], 0, v[74:75]
	v_add_u32_e32 v74, 0xf00, v2
	global_store_short v[16:17], v76, off
	s_waitcnt lgkmcnt(2)
	v_lshl_add_u64 v[16:17], v[66:67], 1, s[78:79]
	v_lshlrev_b32_e32 v66, 1, v74
	v_mov_b32_e32 v67, v1
	v_lshl_add_u64 v[16:17], v[16:17], 0, v[66:67]
	v_or_b32_e32 v75, 0x1000, v2
	global_store_short v[16:17], v77, off
	s_waitcnt lgkmcnt(1)
	v_lshl_add_u64 v[16:17], v[70:71], 1, s[78:79]
	v_lshlrev_b32_e32 v66, 1, v75
	v_lshl_add_u64 v[16:17], v[16:17], 0, v[66:67]
	v_add_u32_e32 v66, 0x1100, v2
	global_store_short v[16:17], v88, off
	s_waitcnt lgkmcnt(0)
	v_lshl_add_u64 v[2:3], v[72:73], 1, s[78:79]
	v_lshlrev_b32_e32 v16, 1, v66
	v_mov_b32_e32 v17, v1
	v_lshl_add_u64 v[2:3], v[2:3], 0, v[16:17]
	global_store_short v[2:3], v89, off
	v_lshlrev_b32_e32 v2, 3, v48
	s_barrier
	v_mov_b32_e32 v19, v1
	s_waitcnt vmcnt(23)
	ds_write_b64 v2, v[14:15] offset:2048
	v_lshlrev_b32_e32 v2, 3, v45
	s_waitcnt vmcnt(22)
	ds_write_b64 v2, v[20:21] offset:2048
	v_lshlrev_b32_e32 v2, 3, v42
	;; [unrolled: 3-line block ×14, first 2 shown]
	ds_write_b64 v2, v[64:65] offset:2048
	v_lshlrev_b32_e32 v2, 3, v26
	s_waitcnt vmcnt(6)
	ds_write_b64 v2, v[12:13] offset:2048
	v_lshlrev_b32_e32 v2, 3, v18
	ds_write_b64 v2, v[68:69] offset:2048
	v_lshlrev_b32_e32 v2, 3, v5
	s_waitcnt vmcnt(5)
	ds_write_b64 v2, v[54:55] offset:2048
	s_waitcnt lgkmcnt(0)
	s_barrier
	ds_read_b64 v[2:3], v78
	ds_read2st64_b64 v[8:11], v6 offset0:4 offset1:8
	ds_read_b64 v[12:13], v79
	ds_read_b64 v[14:15], v80
	ds_read_b64 v[16:17], v81
	s_waitcnt lgkmcnt(4)
	v_lshl_add_u64 v[2:3], v[2:3], 3, s[82:83]
	v_lshl_add_u64 v[2:3], v[2:3], 0, v[6:7]
	s_waitcnt lgkmcnt(3)
	global_store_dwordx2 v[2:3], v[8:9], off
	s_waitcnt lgkmcnt(2)
	v_lshl_add_u64 v[2:3], v[12:13], 3, s[82:83]
	v_lshl_add_u64 v[2:3], v[2:3], 0, v[6:7]
	global_store_dwordx2 v[2:3], v[10:11], off offset:2048
	ds_read2st64_b64 v[8:11], v6 offset0:12 offset1:16
	s_waitcnt lgkmcnt(2)
	v_lshl_add_u64 v[2:3], v[14:15], 3, s[82:83]
	v_add_u32_e32 v12, 0x1000, v6
	v_mov_b32_e32 v13, v1
	v_lshl_add_u64 v[2:3], v[2:3], 0, v[12:13]
	s_waitcnt lgkmcnt(0)
	global_store_dwordx2 v[2:3], v[8:9], off
	v_lshl_add_u64 v[2:3], v[16:17], 3, s[82:83]
	v_add_u32_e32 v8, 0x1800, v6
	v_mov_b32_e32 v9, v1
	v_lshl_add_u64 v[2:3], v[2:3], 0, v[8:9]
	global_store_dwordx2 v[2:3], v[10:11], off
	ds_read_b64 v[2:3], v82
	ds_read2st64_b64 v[8:11], v6 offset0:20 offset1:24
	ds_read_b64 v[12:13], v83
	ds_read_b64 v[14:15], v84
	ds_read_b64 v[16:17], v85
	s_waitcnt lgkmcnt(4)
	v_lshl_add_u64 v[2:3], v[2:3], 3, s[82:83]
	v_or_b32_e32 v18, 0x2000, v6
	v_lshl_add_u64 v[2:3], v[2:3], 0, v[18:19]
	s_waitcnt lgkmcnt(3)
	global_store_dwordx2 v[2:3], v[8:9], off
	s_waitcnt lgkmcnt(2)
	v_lshl_add_u64 v[2:3], v[12:13], 3, s[82:83]
	v_add_u32_e32 v8, 0x2800, v6
	v_mov_b32_e32 v9, v1
	v_lshl_add_u64 v[2:3], v[2:3], 0, v[8:9]
	global_store_dwordx2 v[2:3], v[10:11], off
	ds_read2st64_b64 v[8:11], v6 offset0:28 offset1:32
	s_waitcnt lgkmcnt(2)
	v_lshl_add_u64 v[2:3], v[14:15], 3, s[82:83]
	v_add_u32_e32 v12, 0x3000, v6
	v_mov_b32_e32 v13, v1
	v_lshl_add_u64 v[2:3], v[2:3], 0, v[12:13]
	s_waitcnt lgkmcnt(0)
	global_store_dwordx2 v[2:3], v[8:9], off
	v_lshl_add_u64 v[2:3], v[16:17], 3, s[82:83]
	v_add_u32_e32 v8, 0x3800, v6
	v_mov_b32_e32 v9, v1
	v_lshl_add_u64 v[2:3], v[2:3], 0, v[8:9]
	global_store_dwordx2 v[2:3], v[10:11], off
	ds_read_b64 v[2:3], v86
	ds_read2st64_b64 v[8:11], v6 offset0:36 offset1:40
	ds_read_b64 v[12:13], v87
	ds_read_b64 v[14:15], v49
	;; [unrolled: 1-line block ×3, first 2 shown]
	s_waitcnt lgkmcnt(4)
	v_lshl_add_u64 v[2:3], v[2:3], 3, s[82:83]
	v_lshlrev_b32_e32 v18, 3, v38
	v_lshl_add_u64 v[2:3], v[2:3], 0, v[18:19]
	s_waitcnt lgkmcnt(3)
	global_store_dwordx2 v[2:3], v[8:9], off
	s_waitcnt lgkmcnt(2)
	v_lshl_add_u64 v[2:3], v[12:13], 3, s[82:83]
	v_lshlrev_b32_e32 v8, 3, v43
	v_mov_b32_e32 v9, v1
	v_lshl_add_u64 v[2:3], v[2:3], 0, v[8:9]
	global_store_dwordx2 v[2:3], v[10:11], off
	ds_read2st64_b64 v[8:11], v6 offset0:44 offset1:48
	s_waitcnt lgkmcnt(2)
	v_lshl_add_u64 v[2:3], v[14:15], 3, s[82:83]
	v_lshlrev_b32_e32 v12, 3, v44
	v_mov_b32_e32 v13, v1
	v_lshl_add_u64 v[2:3], v[2:3], 0, v[12:13]
	s_waitcnt lgkmcnt(0)
	global_store_dwordx2 v[2:3], v[8:9], off
	v_lshl_add_u64 v[2:3], v[16:17], 3, s[82:83]
	v_lshlrev_b32_e32 v8, 3, v93
	v_mov_b32_e32 v9, v1
	v_lshl_add_u64 v[2:3], v[2:3], 0, v[8:9]
	global_store_dwordx2 v[2:3], v[10:11], off
	ds_read_b64 v[2:3], v91
	ds_read2st64_b64 v[8:11], v6 offset0:52 offset1:56
	ds_read_b64 v[12:13], v92
	ds_read_b64 v[14:15], v97
	;; [unrolled: 1-line block ×3, first 2 shown]
	s_waitcnt lgkmcnt(4)
	v_lshl_add_u64 v[2:3], v[2:3], 3, s[82:83]
	v_lshlrev_b32_e32 v18, 3, v94
	v_lshl_add_u64 v[2:3], v[2:3], 0, v[18:19]
	s_waitcnt lgkmcnt(3)
	global_store_dwordx2 v[2:3], v[8:9], off
	s_waitcnt lgkmcnt(2)
	v_lshl_add_u64 v[2:3], v[12:13], 3, s[82:83]
	v_lshlrev_b32_e32 v8, 3, v95
	v_mov_b32_e32 v9, v1
	v_lshl_add_u64 v[2:3], v[2:3], 0, v[8:9]
	global_store_dwordx2 v[2:3], v[10:11], off
	ds_read2st64_b64 v[8:11], v6 offset0:60 offset1:64
	s_waitcnt lgkmcnt(2)
	v_lshl_add_u64 v[2:3], v[14:15], 3, s[82:83]
	v_lshlrev_b32_e32 v12, 3, v96
	v_mov_b32_e32 v13, v1
	v_lshl_add_u64 v[2:3], v[2:3], 0, v[12:13]
	s_waitcnt lgkmcnt(0)
	global_store_dwordx2 v[2:3], v[8:9], off
	v_lshl_add_u64 v[2:3], v[16:17], 3, s[82:83]
	v_lshlrev_b32_e32 v8, 3, v74
	v_mov_b32_e32 v9, v1
	ds_read_b64 v[12:13], v99
	v_lshl_add_u64 v[2:3], v[2:3], 0, v[8:9]
	global_store_dwordx2 v[2:3], v[10:11], off
	ds_read2st64_b64 v[8:11], v6 offset0:68 offset1:72
	ds_read_b64 v[2:3], v100
	v_lshlrev_b32_e32 v14, 3, v75
	s_waitcnt lgkmcnt(2)
	v_lshl_add_u64 v[12:13], v[12:13], 3, s[82:83]
	v_mov_b32_e32 v15, v1
	v_lshl_add_u64 v[12:13], v[12:13], 0, v[14:15]
	s_waitcnt lgkmcnt(1)
	global_store_dwordx2 v[12:13], v[8:9], off
	s_waitcnt lgkmcnt(0)
	v_lshl_add_u64 v[2:3], v[2:3], 3, s[82:83]
	v_lshlrev_b32_e32 v8, 3, v66
	v_mov_b32_e32 v9, v1
	v_lshl_add_u64 v[2:3], v[2:3], 0, v[8:9]
	global_store_dwordx2 v[2:3], v[10:11], off
	s_cbranch_scc1 .LBB25_273
; %bb.272:
	ds_read_b64 v[2:3], v6
	v_mov_b32_e32 v5, v1
	v_lshl_add_u64 v[0:1], v[4:5], 0, v[0:1]
	s_waitcnt lgkmcnt(0)
	v_lshl_add_u64 v[0:1], v[0:1], 0, v[2:3]
	global_store_dwordx2 v6, v[0:1], s[86:87]
.LBB25_273:
	s_endpgm
.LBB25_274:
	s_or_b64 exec, exec, s[4:5]
	s_and_saveexec_b64 s[4:5], s[40:41]
	s_cbranch_execz .LBB25_199
.LBB25_275:
	v_lshlrev_b32_e32 v2, 3, v56
	ds_read_b64 v[28:29], v2
	ds_read_b64 v[30:31], v8 offset:4096
	v_mov_b32_e32 v9, 0
	s_waitcnt lgkmcnt(1)
	v_lshl_add_u64 v[28:29], v[28:29], 3, s[82:83]
	v_lshl_add_u64 v[28:29], v[28:29], 0, v[8:9]
	s_waitcnt lgkmcnt(0)
	global_store_dwordx2 v[28:29], v[30:31], off offset:2048
	s_or_b64 exec, exec, s[4:5]
	s_and_saveexec_b64 s[4:5], s[42:43]
	s_cbranch_execnz .LBB25_200
.LBB25_276:
	s_or_b64 exec, exec, s[4:5]
	s_and_saveexec_b64 s[4:5], s[44:45]
	s_cbranch_execz .LBB25_201
.LBB25_277:
	v_lshlrev_b32_e32 v2, 3, v54
	ds_read_b64 v[28:29], v2
	ds_read_b64 v[30:31], v8 offset:8192
	v_lshlrev_b32_e32 v12, 3, v13
	v_mov_b32_e32 v13, 0
	s_waitcnt lgkmcnt(1)
	v_lshl_add_u64 v[28:29], v[28:29], 3, s[82:83]
	v_lshl_add_u64 v[12:13], v[28:29], 0, v[12:13]
	s_waitcnt lgkmcnt(0)
	global_store_dwordx2 v[12:13], v[30:31], off
	s_or_b64 exec, exec, s[4:5]
	s_and_saveexec_b64 s[4:5], s[46:47]
	s_cbranch_execnz .LBB25_202
.LBB25_278:
	s_or_b64 exec, exec, s[4:5]
	s_and_saveexec_b64 s[4:5], s[48:49]
	s_cbranch_execz .LBB25_203
.LBB25_279:
	v_lshlrev_b32_e32 v2, 3, v52
	ds_read_b64 v[12:13], v2
	ds_read_b64 v[28:29], v8 offset:12288
	v_lshlrev_b32_e32 v16, 3, v16
	v_mov_b32_e32 v17, 0
	s_waitcnt lgkmcnt(1)
	v_lshl_add_u64 v[12:13], v[12:13], 3, s[82:83]
	v_lshl_add_u64 v[12:13], v[12:13], 0, v[16:17]
	s_waitcnt lgkmcnt(0)
	global_store_dwordx2 v[12:13], v[28:29], off
	s_or_b64 exec, exec, s[4:5]
	s_and_saveexec_b64 s[4:5], s[50:51]
	s_cbranch_execnz .LBB25_204
.LBB25_280:
	s_or_b64 exec, exec, s[4:5]
	s_and_saveexec_b64 s[4:5], s[52:53]
	s_cbranch_execz .LBB25_205
.LBB25_281:
	v_lshlrev_b32_e32 v2, 3, v50
	ds_read_b64 v[12:13], v2
	ds_read_b64 v[16:17], v8 offset:16384
	v_lshlrev_b32_e32 v18, 3, v19
	v_mov_b32_e32 v19, 0
	s_waitcnt lgkmcnt(1)
	v_lshl_add_u64 v[12:13], v[12:13], 3, s[82:83]
	v_lshl_add_u64 v[12:13], v[12:13], 0, v[18:19]
	s_waitcnt lgkmcnt(0)
	global_store_dwordx2 v[12:13], v[16:17], off
	s_or_b64 exec, exec, s[4:5]
	s_and_saveexec_b64 s[4:5], s[54:55]
	s_cbranch_execnz .LBB25_206
.LBB25_282:
	s_or_b64 exec, exec, s[4:5]
	s_and_saveexec_b64 s[4:5], s[56:57]
	s_cbranch_execz .LBB25_207
.LBB25_283:
	v_lshlrev_b32_e32 v2, 3, v48
	ds_read_b64 v[12:13], v2
	ds_read_b64 v[16:17], v8 offset:20480
	v_lshlrev_b32_e32 v18, 3, v21
	v_mov_b32_e32 v19, 0
	s_waitcnt lgkmcnt(1)
	v_lshl_add_u64 v[12:13], v[12:13], 3, s[82:83]
	v_lshl_add_u64 v[12:13], v[12:13], 0, v[18:19]
	s_waitcnt lgkmcnt(0)
	global_store_dwordx2 v[12:13], v[16:17], off
	s_or_b64 exec, exec, s[4:5]
	s_and_saveexec_b64 s[4:5], s[58:59]
	s_cbranch_execnz .LBB25_208
.LBB25_284:
	s_or_b64 exec, exec, s[4:5]
	s_and_saveexec_b64 s[4:5], s[60:61]
	s_cbranch_execz .LBB25_209
.LBB25_285:
	v_lshlrev_b32_e32 v2, 3, v46
	ds_read_b64 v[12:13], v2
	ds_read_b64 v[16:17], v8 offset:24576
	v_lshlrev_b32_e32 v18, 3, v23
	v_mov_b32_e32 v19, 0
	s_waitcnt lgkmcnt(1)
	v_lshl_add_u64 v[12:13], v[12:13], 3, s[82:83]
	v_lshl_add_u64 v[12:13], v[12:13], 0, v[18:19]
	s_waitcnt lgkmcnt(0)
	global_store_dwordx2 v[12:13], v[16:17], off
	s_or_b64 exec, exec, s[4:5]
	s_and_saveexec_b64 s[4:5], s[62:63]
	s_cbranch_execnz .LBB25_210
.LBB25_286:
	s_or_b64 exec, exec, s[4:5]
	s_and_saveexec_b64 s[4:5], s[64:65]
	s_cbranch_execz .LBB25_211
.LBB25_287:
	v_lshlrev_b32_e32 v2, 3, v11
	ds_read_b64 v[12:13], v2
	ds_read_b64 v[16:17], v8 offset:28672
	v_lshlrev_b32_e32 v18, 3, v25
	v_mov_b32_e32 v19, 0
	s_waitcnt lgkmcnt(1)
	v_lshl_add_u64 v[12:13], v[12:13], 3, s[82:83]
	v_lshl_add_u64 v[12:13], v[12:13], 0, v[18:19]
	s_waitcnt lgkmcnt(0)
	global_store_dwordx2 v[12:13], v[16:17], off
	s_or_b64 exec, exec, s[4:5]
	s_and_saveexec_b64 s[4:5], s[66:67]
	s_cbranch_execnz .LBB25_212
.LBB25_288:
	s_or_b64 exec, exec, s[4:5]
	s_and_saveexec_b64 s[4:5], s[68:69]
	s_cbranch_execz .LBB25_213
.LBB25_289:
	v_lshlrev_b32_e32 v2, 3, v10
	ds_read_b64 v[10:11], v2
	ds_read_b64 v[12:13], v8 offset:32768
	v_lshlrev_b32_e32 v16, 3, v27
	v_mov_b32_e32 v17, 0
	s_waitcnt lgkmcnt(1)
	v_lshl_add_u64 v[10:11], v[10:11], 3, s[82:83]
	v_lshl_add_u64 v[10:11], v[10:11], 0, v[16:17]
	s_waitcnt lgkmcnt(0)
	global_store_dwordx2 v[10:11], v[12:13], off
	s_or_b64 exec, exec, s[4:5]
	s_and_saveexec_b64 s[4:5], s[70:71]
	s_cbranch_execnz .LBB25_214
.LBB25_290:
	s_or_b64 exec, exec, s[4:5]
	s_and_saveexec_b64 s[4:5], s[72:73]
	s_cbranch_execz .LBB25_215
.LBB25_291:
	v_lshlrev_b32_e32 v2, 3, v3
	ds_read_b64 v[2:3], v2
	ds_read_b64 v[10:11], v8 offset:36864
	v_lshlrev_b32_e32 v12, 3, v44
	v_mov_b32_e32 v13, 0
	s_waitcnt lgkmcnt(1)
	v_lshl_add_u64 v[2:3], v[2:3], 3, s[82:83]
	v_lshl_add_u64 v[2:3], v[2:3], 0, v[12:13]
	s_waitcnt lgkmcnt(0)
	global_store_dwordx2 v[2:3], v[10:11], off
	s_or_b64 exec, exec, s[4:5]
	s_add_i32 s33, s33, -1
	s_cmp_eq_u32 s2, s33
	s_cbranch_scc1 .LBB25_216
	s_branch .LBB25_217
	.section	.rodata,"a",@progbits
	.p2align	6, 0x0
	.amdhsa_kernel _ZN7rocprim17ROCPRIM_304000_NS6detail25onesweep_iteration_kernelINS1_34wrapped_radix_sort_onesweep_configINS0_14default_configEtN2at4cuda3cub6detail10OpaqueTypeILi8EEEEELb0EPtSC_PSA_SD_mNS0_19identity_decomposerEEEvT1_T2_T3_T4_jPT5_SK_PNS1_23onesweep_lookback_stateET6_jjj
		.amdhsa_group_segment_fixed_size 38912
		.amdhsa_private_segment_fixed_size 0
		.amdhsa_kernarg_size 336
		.amdhsa_user_sgpr_count 2
		.amdhsa_user_sgpr_dispatch_ptr 0
		.amdhsa_user_sgpr_queue_ptr 0
		.amdhsa_user_sgpr_kernarg_segment_ptr 1
		.amdhsa_user_sgpr_dispatch_id 0
		.amdhsa_user_sgpr_kernarg_preload_length 0
		.amdhsa_user_sgpr_kernarg_preload_offset 0
		.amdhsa_user_sgpr_private_segment_size 0
		.amdhsa_uses_dynamic_stack 0
		.amdhsa_enable_private_segment 0
		.amdhsa_system_sgpr_workgroup_id_x 1
		.amdhsa_system_sgpr_workgroup_id_y 0
		.amdhsa_system_sgpr_workgroup_id_z 0
		.amdhsa_system_sgpr_workgroup_info 0
		.amdhsa_system_vgpr_workitem_id 2
		.amdhsa_next_free_vgpr 101
		.amdhsa_next_free_sgpr 97
		.amdhsa_accum_offset 104
		.amdhsa_reserve_vcc 1
		.amdhsa_float_round_mode_32 0
		.amdhsa_float_round_mode_16_64 0
		.amdhsa_float_denorm_mode_32 3
		.amdhsa_float_denorm_mode_16_64 3
		.amdhsa_dx10_clamp 1
		.amdhsa_ieee_mode 1
		.amdhsa_fp16_overflow 0
		.amdhsa_tg_split 0
		.amdhsa_exception_fp_ieee_invalid_op 0
		.amdhsa_exception_fp_denorm_src 0
		.amdhsa_exception_fp_ieee_div_zero 0
		.amdhsa_exception_fp_ieee_overflow 0
		.amdhsa_exception_fp_ieee_underflow 0
		.amdhsa_exception_fp_ieee_inexact 0
		.amdhsa_exception_int_div_zero 0
	.end_amdhsa_kernel
	.section	.text._ZN7rocprim17ROCPRIM_304000_NS6detail25onesweep_iteration_kernelINS1_34wrapped_radix_sort_onesweep_configINS0_14default_configEtN2at4cuda3cub6detail10OpaqueTypeILi8EEEEELb0EPtSC_PSA_SD_mNS0_19identity_decomposerEEEvT1_T2_T3_T4_jPT5_SK_PNS1_23onesweep_lookback_stateET6_jjj,"axG",@progbits,_ZN7rocprim17ROCPRIM_304000_NS6detail25onesweep_iteration_kernelINS1_34wrapped_radix_sort_onesweep_configINS0_14default_configEtN2at4cuda3cub6detail10OpaqueTypeILi8EEEEELb0EPtSC_PSA_SD_mNS0_19identity_decomposerEEEvT1_T2_T3_T4_jPT5_SK_PNS1_23onesweep_lookback_stateET6_jjj,comdat
.Lfunc_end25:
	.size	_ZN7rocprim17ROCPRIM_304000_NS6detail25onesweep_iteration_kernelINS1_34wrapped_radix_sort_onesweep_configINS0_14default_configEtN2at4cuda3cub6detail10OpaqueTypeILi8EEEEELb0EPtSC_PSA_SD_mNS0_19identity_decomposerEEEvT1_T2_T3_T4_jPT5_SK_PNS1_23onesweep_lookback_stateET6_jjj, .Lfunc_end25-_ZN7rocprim17ROCPRIM_304000_NS6detail25onesweep_iteration_kernelINS1_34wrapped_radix_sort_onesweep_configINS0_14default_configEtN2at4cuda3cub6detail10OpaqueTypeILi8EEEEELb0EPtSC_PSA_SD_mNS0_19identity_decomposerEEEvT1_T2_T3_T4_jPT5_SK_PNS1_23onesweep_lookback_stateET6_jjj
                                        ; -- End function
	.set _ZN7rocprim17ROCPRIM_304000_NS6detail25onesweep_iteration_kernelINS1_34wrapped_radix_sort_onesweep_configINS0_14default_configEtN2at4cuda3cub6detail10OpaqueTypeILi8EEEEELb0EPtSC_PSA_SD_mNS0_19identity_decomposerEEEvT1_T2_T3_T4_jPT5_SK_PNS1_23onesweep_lookback_stateET6_jjj.num_vgpr, 101
	.set _ZN7rocprim17ROCPRIM_304000_NS6detail25onesweep_iteration_kernelINS1_34wrapped_radix_sort_onesweep_configINS0_14default_configEtN2at4cuda3cub6detail10OpaqueTypeILi8EEEEELb0EPtSC_PSA_SD_mNS0_19identity_decomposerEEEvT1_T2_T3_T4_jPT5_SK_PNS1_23onesweep_lookback_stateET6_jjj.num_agpr, 0
	.set _ZN7rocprim17ROCPRIM_304000_NS6detail25onesweep_iteration_kernelINS1_34wrapped_radix_sort_onesweep_configINS0_14default_configEtN2at4cuda3cub6detail10OpaqueTypeILi8EEEEELb0EPtSC_PSA_SD_mNS0_19identity_decomposerEEEvT1_T2_T3_T4_jPT5_SK_PNS1_23onesweep_lookback_stateET6_jjj.numbered_sgpr, 97
	.set _ZN7rocprim17ROCPRIM_304000_NS6detail25onesweep_iteration_kernelINS1_34wrapped_radix_sort_onesweep_configINS0_14default_configEtN2at4cuda3cub6detail10OpaqueTypeILi8EEEEELb0EPtSC_PSA_SD_mNS0_19identity_decomposerEEEvT1_T2_T3_T4_jPT5_SK_PNS1_23onesweep_lookback_stateET6_jjj.num_named_barrier, 0
	.set _ZN7rocprim17ROCPRIM_304000_NS6detail25onesweep_iteration_kernelINS1_34wrapped_radix_sort_onesweep_configINS0_14default_configEtN2at4cuda3cub6detail10OpaqueTypeILi8EEEEELb0EPtSC_PSA_SD_mNS0_19identity_decomposerEEEvT1_T2_T3_T4_jPT5_SK_PNS1_23onesweep_lookback_stateET6_jjj.private_seg_size, 0
	.set _ZN7rocprim17ROCPRIM_304000_NS6detail25onesweep_iteration_kernelINS1_34wrapped_radix_sort_onesweep_configINS0_14default_configEtN2at4cuda3cub6detail10OpaqueTypeILi8EEEEELb0EPtSC_PSA_SD_mNS0_19identity_decomposerEEEvT1_T2_T3_T4_jPT5_SK_PNS1_23onesweep_lookback_stateET6_jjj.uses_vcc, 1
	.set _ZN7rocprim17ROCPRIM_304000_NS6detail25onesweep_iteration_kernelINS1_34wrapped_radix_sort_onesweep_configINS0_14default_configEtN2at4cuda3cub6detail10OpaqueTypeILi8EEEEELb0EPtSC_PSA_SD_mNS0_19identity_decomposerEEEvT1_T2_T3_T4_jPT5_SK_PNS1_23onesweep_lookback_stateET6_jjj.uses_flat_scratch, 0
	.set _ZN7rocprim17ROCPRIM_304000_NS6detail25onesweep_iteration_kernelINS1_34wrapped_radix_sort_onesweep_configINS0_14default_configEtN2at4cuda3cub6detail10OpaqueTypeILi8EEEEELb0EPtSC_PSA_SD_mNS0_19identity_decomposerEEEvT1_T2_T3_T4_jPT5_SK_PNS1_23onesweep_lookback_stateET6_jjj.has_dyn_sized_stack, 0
	.set _ZN7rocprim17ROCPRIM_304000_NS6detail25onesweep_iteration_kernelINS1_34wrapped_radix_sort_onesweep_configINS0_14default_configEtN2at4cuda3cub6detail10OpaqueTypeILi8EEEEELb0EPtSC_PSA_SD_mNS0_19identity_decomposerEEEvT1_T2_T3_T4_jPT5_SK_PNS1_23onesweep_lookback_stateET6_jjj.has_recursion, 0
	.set _ZN7rocprim17ROCPRIM_304000_NS6detail25onesweep_iteration_kernelINS1_34wrapped_radix_sort_onesweep_configINS0_14default_configEtN2at4cuda3cub6detail10OpaqueTypeILi8EEEEELb0EPtSC_PSA_SD_mNS0_19identity_decomposerEEEvT1_T2_T3_T4_jPT5_SK_PNS1_23onesweep_lookback_stateET6_jjj.has_indirect_call, 0
	.section	.AMDGPU.csdata,"",@progbits
; Kernel info:
; codeLenInByte = 27560
; TotalNumSgprs: 103
; NumVgprs: 101
; NumAgprs: 0
; TotalNumVgprs: 101
; ScratchSize: 0
; MemoryBound: 0
; FloatMode: 240
; IeeeMode: 1
; LDSByteSize: 38912 bytes/workgroup (compile time only)
; SGPRBlocks: 12
; VGPRBlocks: 12
; NumSGPRsForWavesPerEU: 103
; NumVGPRsForWavesPerEU: 101
; AccumOffset: 104
; Occupancy: 4
; WaveLimiterHint : 1
; COMPUTE_PGM_RSRC2:SCRATCH_EN: 0
; COMPUTE_PGM_RSRC2:USER_SGPR: 2
; COMPUTE_PGM_RSRC2:TRAP_HANDLER: 0
; COMPUTE_PGM_RSRC2:TGID_X_EN: 1
; COMPUTE_PGM_RSRC2:TGID_Y_EN: 0
; COMPUTE_PGM_RSRC2:TGID_Z_EN: 0
; COMPUTE_PGM_RSRC2:TIDIG_COMP_CNT: 2
; COMPUTE_PGM_RSRC3_GFX90A:ACCUM_OFFSET: 25
; COMPUTE_PGM_RSRC3_GFX90A:TG_SPLIT: 0
	.section	.AMDGPU.gpr_maximums,"",@progbits
	.set amdgpu.max_num_vgpr, 0
	.set amdgpu.max_num_agpr, 0
	.set amdgpu.max_num_sgpr, 0
	.section	.AMDGPU.csdata,"",@progbits
	.type	__hip_cuid_fc7cc3920282a8b7,@object ; @__hip_cuid_fc7cc3920282a8b7
	.section	.bss,"aw",@nobits
	.globl	__hip_cuid_fc7cc3920282a8b7
__hip_cuid_fc7cc3920282a8b7:
	.byte	0                               ; 0x0
	.size	__hip_cuid_fc7cc3920282a8b7, 1

	.ident	"AMD clang version 22.0.0git (https://github.com/RadeonOpenCompute/llvm-project roc-7.2.4 26084 f58b06dce1f9c15707c5f808fd002e18c2accf7e)"
	.section	".note.GNU-stack","",@progbits
	.addrsig
	.addrsig_sym __hip_cuid_fc7cc3920282a8b7
	.amdgpu_metadata
---
amdhsa.kernels:
  - .agpr_count:     0
    .args:
      - .address_space:  global
        .offset:         0
        .size:           8
        .value_kind:     global_buffer
      - .address_space:  global
        .offset:         8
        .size:           8
        .value_kind:     global_buffer
      - .address_space:  global
        .offset:         16
        .size:           8
        .value_kind:     global_buffer
      - .address_space:  global
        .offset:         24
        .size:           8
        .value_kind:     global_buffer
      - .offset:         32
        .size:           4
        .value_kind:     by_value
      - .offset:         36
        .size:           1
        .value_kind:     by_value
      - .offset:         40
        .size:           4
        .value_kind:     by_value
      - .offset:         44
        .size:           4
        .value_kind:     by_value
      - .offset:         48
        .size:           4
        .value_kind:     hidden_block_count_x
      - .offset:         52
        .size:           4
        .value_kind:     hidden_block_count_y
      - .offset:         56
        .size:           4
        .value_kind:     hidden_block_count_z
      - .offset:         60
        .size:           2
        .value_kind:     hidden_group_size_x
      - .offset:         62
        .size:           2
        .value_kind:     hidden_group_size_y
      - .offset:         64
        .size:           2
        .value_kind:     hidden_group_size_z
      - .offset:         66
        .size:           2
        .value_kind:     hidden_remainder_x
      - .offset:         68
        .size:           2
        .value_kind:     hidden_remainder_y
      - .offset:         70
        .size:           2
        .value_kind:     hidden_remainder_z
      - .offset:         88
        .size:           8
        .value_kind:     hidden_global_offset_x
      - .offset:         96
        .size:           8
        .value_kind:     hidden_global_offset_y
      - .offset:         104
        .size:           8
        .value_kind:     hidden_global_offset_z
      - .offset:         112
        .size:           2
        .value_kind:     hidden_grid_dims
    .group_segment_fixed_size: 8192
    .kernarg_segment_align: 8
    .kernarg_segment_size: 304
    .language:       OpenCL C
    .language_version:
      - 2
      - 0
    .max_flat_workgroup_size: 256
    .name:           _ZN7rocprim17ROCPRIM_304000_NS6detail28radix_sort_block_sort_kernelINS1_36wrapped_radix_sort_block_sort_configINS0_13kernel_configILj256ELj4ELj4294967295EEEtN2at4cuda3cub6detail10OpaqueTypeILi8EEEEELb1EPKtPtPKSB_PSB_NS0_19identity_decomposerEEEvT1_T2_T3_T4_jT5_jj
    .private_segment_fixed_size: 0
    .sgpr_count:     54
    .sgpr_spill_count: 0
    .symbol:         _ZN7rocprim17ROCPRIM_304000_NS6detail28radix_sort_block_sort_kernelINS1_36wrapped_radix_sort_block_sort_configINS0_13kernel_configILj256ELj4ELj4294967295EEEtN2at4cuda3cub6detail10OpaqueTypeILi8EEEEELb1EPKtPtPKSB_PSB_NS0_19identity_decomposerEEEvT1_T2_T3_T4_jT5_jj.kd
    .uniform_work_group_size: 1
    .uses_dynamic_stack: false
    .vgpr_count:     54
    .vgpr_spill_count: 0
    .wavefront_size: 64
  - .agpr_count:     0
    .args:           []
    .group_segment_fixed_size: 0
    .kernarg_segment_align: 4
    .kernarg_segment_size: 0
    .language:       OpenCL C
    .language_version:
      - 2
      - 0
    .max_flat_workgroup_size: 1024
    .name:           _ZN7rocprim17ROCPRIM_304000_NS6detail39device_merge_sort_compile_time_verifierINS1_36wrapped_merge_sort_block_sort_configINS1_28merge_sort_block_sort_configILj256ELj4ELNS0_20block_sort_algorithmE0EEEtN2at4cuda3cub6detail10OpaqueTypeILi8EEEEENS1_37wrapped_merge_sort_block_merge_configINS0_14default_configEtSC_EEEEvv
    .private_segment_fixed_size: 0
    .sgpr_count:     6
    .sgpr_spill_count: 0
    .symbol:         _ZN7rocprim17ROCPRIM_304000_NS6detail39device_merge_sort_compile_time_verifierINS1_36wrapped_merge_sort_block_sort_configINS1_28merge_sort_block_sort_configILj256ELj4ELNS0_20block_sort_algorithmE0EEEtN2at4cuda3cub6detail10OpaqueTypeILi8EEEEENS1_37wrapped_merge_sort_block_merge_configINS0_14default_configEtSC_EEEEvv.kd
    .uniform_work_group_size: 1
    .uses_dynamic_stack: false
    .vgpr_count:     0
    .vgpr_spill_count: 0
    .wavefront_size: 64
  - .agpr_count:     0
    .args:
      - .address_space:  global
        .offset:         0
        .size:           8
        .value_kind:     global_buffer
      - .offset:         8
        .size:           4
        .value_kind:     by_value
      - .offset:         12
        .size:           4
        .value_kind:     by_value
      - .address_space:  global
        .offset:         16
        .size:           8
        .value_kind:     global_buffer
      - .offset:         24
        .size:           1
        .value_kind:     by_value
      - .offset:         28
        .size:           4
        .value_kind:     by_value
    .group_segment_fixed_size: 0
    .kernarg_segment_align: 8
    .kernarg_segment_size: 32
    .language:       OpenCL C
    .language_version:
      - 2
      - 0
    .max_flat_workgroup_size: 128
    .name:           _ZN7rocprim17ROCPRIM_304000_NS6detail45device_block_merge_mergepath_partition_kernelINS1_37wrapped_merge_sort_block_merge_configINS0_14default_configEtN2at4cuda3cub6detail10OpaqueTypeILi8EEEEEPtjNS1_19radix_merge_compareILb1ELb0EtNS0_19identity_decomposerEEEEEvT0_T1_jPSH_T2_SH_
    .private_segment_fixed_size: 0
    .sgpr_count:     12
    .sgpr_spill_count: 0
    .symbol:         _ZN7rocprim17ROCPRIM_304000_NS6detail45device_block_merge_mergepath_partition_kernelINS1_37wrapped_merge_sort_block_merge_configINS0_14default_configEtN2at4cuda3cub6detail10OpaqueTypeILi8EEEEEPtjNS1_19radix_merge_compareILb1ELb0EtNS0_19identity_decomposerEEEEEvT0_T1_jPSH_T2_SH_.kd
    .uniform_work_group_size: 1
    .uses_dynamic_stack: false
    .vgpr_count:     17
    .vgpr_spill_count: 0
    .wavefront_size: 64
  - .agpr_count:     0
    .args:
      - .address_space:  global
        .offset:         0
        .size:           8
        .value_kind:     global_buffer
      - .address_space:  global
        .offset:         8
        .size:           8
        .value_kind:     global_buffer
      - .address_space:  global
        .offset:         16
        .size:           8
        .value_kind:     global_buffer
      - .address_space:  global
        .offset:         24
        .size:           8
        .value_kind:     global_buffer
      - .offset:         32
        .size:           4
        .value_kind:     by_value
      - .offset:         36
        .size:           4
        .value_kind:     by_value
      - .offset:         40
        .size:           4
        .value_kind:     by_value
      - .offset:         44
        .size:           1
        .value_kind:     by_value
      - .address_space:  global
        .offset:         48
        .size:           8
        .value_kind:     global_buffer
      - .address_space:  global
        .offset:         56
        .size:           8
        .value_kind:     global_buffer
      - .offset:         64
        .size:           4
        .value_kind:     hidden_block_count_x
      - .offset:         68
        .size:           4
        .value_kind:     hidden_block_count_y
      - .offset:         72
        .size:           4
        .value_kind:     hidden_block_count_z
      - .offset:         76
        .size:           2
        .value_kind:     hidden_group_size_x
      - .offset:         78
        .size:           2
        .value_kind:     hidden_group_size_y
      - .offset:         80
        .size:           2
        .value_kind:     hidden_group_size_z
      - .offset:         82
        .size:           2
        .value_kind:     hidden_remainder_x
      - .offset:         84
        .size:           2
        .value_kind:     hidden_remainder_y
      - .offset:         86
        .size:           2
        .value_kind:     hidden_remainder_z
      - .offset:         104
        .size:           8
        .value_kind:     hidden_global_offset_x
      - .offset:         112
        .size:           8
        .value_kind:     hidden_global_offset_y
      - .offset:         120
        .size:           8
        .value_kind:     hidden_global_offset_z
      - .offset:         128
        .size:           2
        .value_kind:     hidden_grid_dims
    .group_segment_fixed_size: 8208
    .kernarg_segment_align: 8
    .kernarg_segment_size: 320
    .language:       OpenCL C
    .language_version:
      - 2
      - 0
    .max_flat_workgroup_size: 512
    .name:           _ZN7rocprim17ROCPRIM_304000_NS6detail35device_block_merge_mergepath_kernelINS1_37wrapped_merge_sort_block_merge_configINS0_14default_configEtN2at4cuda3cub6detail10OpaqueTypeILi8EEEEEPtSC_PSA_SD_jNS1_19radix_merge_compareILb1ELb0EtNS0_19identity_decomposerEEEEEvT0_T1_T2_T3_T4_SL_jT5_PKSL_NS1_7vsmem_tE
    .private_segment_fixed_size: 0
    .sgpr_count:     37
    .sgpr_spill_count: 0
    .symbol:         _ZN7rocprim17ROCPRIM_304000_NS6detail35device_block_merge_mergepath_kernelINS1_37wrapped_merge_sort_block_merge_configINS0_14default_configEtN2at4cuda3cub6detail10OpaqueTypeILi8EEEEEPtSC_PSA_SD_jNS1_19radix_merge_compareILb1ELb0EtNS0_19identity_decomposerEEEEEvT0_T1_T2_T3_T4_SL_jT5_PKSL_NS1_7vsmem_tE.kd
    .uniform_work_group_size: 1
    .uses_dynamic_stack: false
    .vgpr_count:     14
    .vgpr_spill_count: 0
    .wavefront_size: 64
  - .agpr_count:     0
    .args:
      - .address_space:  global
        .offset:         0
        .size:           8
        .value_kind:     global_buffer
      - .address_space:  global
        .offset:         8
        .size:           8
        .value_kind:     global_buffer
      - .address_space:  global
        .offset:         16
        .size:           8
        .value_kind:     global_buffer
      - .address_space:  global
        .offset:         24
        .size:           8
        .value_kind:     global_buffer
      - .offset:         32
        .size:           4
        .value_kind:     by_value
      - .offset:         36
        .size:           4
        .value_kind:     by_value
      - .offset:         40
        .size:           1
        .value_kind:     by_value
    .group_segment_fixed_size: 0
    .kernarg_segment_align: 8
    .kernarg_segment_size: 44
    .language:       OpenCL C
    .language_version:
      - 2
      - 0
    .max_flat_workgroup_size: 256
    .name:           _ZN7rocprim17ROCPRIM_304000_NS6detail33device_block_merge_oddeven_kernelINS1_37wrapped_merge_sort_block_merge_configINS0_14default_configEtN2at4cuda3cub6detail10OpaqueTypeILi8EEEEEPtSC_PSA_SD_jNS1_19radix_merge_compareILb1ELb0EtNS0_19identity_decomposerEEEEEvT0_T1_T2_T3_T4_SL_T5_
    .private_segment_fixed_size: 0
    .sgpr_count:     28
    .sgpr_spill_count: 0
    .symbol:         _ZN7rocprim17ROCPRIM_304000_NS6detail33device_block_merge_oddeven_kernelINS1_37wrapped_merge_sort_block_merge_configINS0_14default_configEtN2at4cuda3cub6detail10OpaqueTypeILi8EEEEEPtSC_PSA_SD_jNS1_19radix_merge_compareILb1ELb0EtNS0_19identity_decomposerEEEEEvT0_T1_T2_T3_T4_SL_T5_.kd
    .uniform_work_group_size: 1
    .uses_dynamic_stack: false
    .vgpr_count:     10
    .vgpr_spill_count: 0
    .wavefront_size: 64
  - .agpr_count:     0
    .args:
      - .address_space:  global
        .offset:         0
        .size:           8
        .value_kind:     global_buffer
      - .offset:         8
        .size:           8
        .value_kind:     by_value
      - .address_space:  global
        .offset:         16
        .size:           8
        .value_kind:     global_buffer
      - .offset:         24
        .size:           1
        .value_kind:     by_value
      - .offset:         32
        .size:           4
        .value_kind:     hidden_block_count_x
      - .offset:         36
        .size:           4
        .value_kind:     hidden_block_count_y
      - .offset:         40
        .size:           4
        .value_kind:     hidden_block_count_z
      - .offset:         44
        .size:           2
        .value_kind:     hidden_group_size_x
      - .offset:         46
        .size:           2
        .value_kind:     hidden_group_size_y
      - .offset:         48
        .size:           2
        .value_kind:     hidden_group_size_z
      - .offset:         50
        .size:           2
        .value_kind:     hidden_remainder_x
      - .offset:         52
        .size:           2
        .value_kind:     hidden_remainder_y
      - .offset:         54
        .size:           2
        .value_kind:     hidden_remainder_z
      - .offset:         72
        .size:           8
        .value_kind:     hidden_global_offset_x
      - .offset:         80
        .size:           8
        .value_kind:     hidden_global_offset_y
      - .offset:         88
        .size:           8
        .value_kind:     hidden_global_offset_z
      - .offset:         96
        .size:           2
        .value_kind:     hidden_grid_dims
    .group_segment_fixed_size: 0
    .kernarg_segment_align: 8
    .kernarg_segment_size: 288
    .language:       OpenCL C
    .language_version:
      - 2
      - 0
    .max_flat_workgroup_size: 128
    .name:           _ZN7rocprim17ROCPRIM_304000_NS6detail16transform_kernelINS1_24wrapped_transform_configINS0_14default_configEtEEtPtS6_NS0_8identityItEEEEvT1_mT2_T3_
    .private_segment_fixed_size: 0
    .sgpr_count:     21
    .sgpr_spill_count: 0
    .symbol:         _ZN7rocprim17ROCPRIM_304000_NS6detail16transform_kernelINS1_24wrapped_transform_configINS0_14default_configEtEEtPtS6_NS0_8identityItEEEEvT1_mT2_T3_.kd
    .uniform_work_group_size: 1
    .uses_dynamic_stack: false
    .vgpr_count:     10
    .vgpr_spill_count: 0
    .wavefront_size: 64
  - .agpr_count:     0
    .args:
      - .address_space:  global
        .offset:         0
        .size:           8
        .value_kind:     global_buffer
      - .offset:         8
        .size:           8
        .value_kind:     by_value
      - .address_space:  global
        .offset:         16
        .size:           8
        .value_kind:     global_buffer
      - .offset:         24
        .size:           1
        .value_kind:     by_value
      - .offset:         32
        .size:           4
        .value_kind:     hidden_block_count_x
      - .offset:         36
        .size:           4
        .value_kind:     hidden_block_count_y
      - .offset:         40
        .size:           4
        .value_kind:     hidden_block_count_z
      - .offset:         44
        .size:           2
        .value_kind:     hidden_group_size_x
      - .offset:         46
        .size:           2
        .value_kind:     hidden_group_size_y
      - .offset:         48
        .size:           2
        .value_kind:     hidden_group_size_z
      - .offset:         50
        .size:           2
        .value_kind:     hidden_remainder_x
      - .offset:         52
        .size:           2
        .value_kind:     hidden_remainder_y
      - .offset:         54
        .size:           2
        .value_kind:     hidden_remainder_z
      - .offset:         72
        .size:           8
        .value_kind:     hidden_global_offset_x
      - .offset:         80
        .size:           8
        .value_kind:     hidden_global_offset_y
      - .offset:         88
        .size:           8
        .value_kind:     hidden_global_offset_z
      - .offset:         96
        .size:           2
        .value_kind:     hidden_grid_dims
    .group_segment_fixed_size: 0
    .kernarg_segment_align: 8
    .kernarg_segment_size: 288
    .language:       OpenCL C
    .language_version:
      - 2
      - 0
    .max_flat_workgroup_size: 128
    .name:           _ZN7rocprim17ROCPRIM_304000_NS6detail16transform_kernelINS1_24wrapped_transform_configINS0_14default_configEN2at4cuda3cub6detail10OpaqueTypeILi8EEEEESA_PSA_SC_NS0_8identityISA_EEEEvT1_mT2_T3_
    .private_segment_fixed_size: 0
    .sgpr_count:     16
    .sgpr_spill_count: 0
    .symbol:         _ZN7rocprim17ROCPRIM_304000_NS6detail16transform_kernelINS1_24wrapped_transform_configINS0_14default_configEN2at4cuda3cub6detail10OpaqueTypeILi8EEEEESA_PSA_SC_NS0_8identityISA_EEEEvT1_mT2_T3_.kd
    .uniform_work_group_size: 1
    .uses_dynamic_stack: false
    .vgpr_count:     3
    .vgpr_spill_count: 0
    .wavefront_size: 64
  - .agpr_count:     0
    .args:
      - .address_space:  global
        .offset:         0
        .size:           8
        .value_kind:     global_buffer
      - .offset:         8
        .size:           4
        .value_kind:     by_value
      - .offset:         12
        .size:           4
        .value_kind:     by_value
      - .address_space:  global
        .offset:         16
        .size:           8
        .value_kind:     global_buffer
      - .offset:         24
        .size:           2
        .value_kind:     by_value
      - .offset:         28
        .size:           4
        .value_kind:     by_value
    .group_segment_fixed_size: 0
    .kernarg_segment_align: 8
    .kernarg_segment_size: 32
    .language:       OpenCL C
    .language_version:
      - 2
      - 0
    .max_flat_workgroup_size: 128
    .name:           _ZN7rocprim17ROCPRIM_304000_NS6detail45device_block_merge_mergepath_partition_kernelINS1_37wrapped_merge_sort_block_merge_configINS0_14default_configEtN2at4cuda3cub6detail10OpaqueTypeILi8EEEEEPtjNS1_19radix_merge_compareILb1ELb1EtNS0_19identity_decomposerEEEEEvT0_T1_jPSH_T2_SH_
    .private_segment_fixed_size: 0
    .sgpr_count:     14
    .sgpr_spill_count: 0
    .symbol:         _ZN7rocprim17ROCPRIM_304000_NS6detail45device_block_merge_mergepath_partition_kernelINS1_37wrapped_merge_sort_block_merge_configINS0_14default_configEtN2at4cuda3cub6detail10OpaqueTypeILi8EEEEEPtjNS1_19radix_merge_compareILb1ELb1EtNS0_19identity_decomposerEEEEEvT0_T1_jPSH_T2_SH_.kd
    .uniform_work_group_size: 1
    .uses_dynamic_stack: false
    .vgpr_count:     17
    .vgpr_spill_count: 0
    .wavefront_size: 64
  - .agpr_count:     0
    .args:
      - .address_space:  global
        .offset:         0
        .size:           8
        .value_kind:     global_buffer
      - .address_space:  global
        .offset:         8
        .size:           8
        .value_kind:     global_buffer
      - .address_space:  global
        .offset:         16
        .size:           8
        .value_kind:     global_buffer
      - .address_space:  global
        .offset:         24
        .size:           8
        .value_kind:     global_buffer
      - .offset:         32
        .size:           4
        .value_kind:     by_value
      - .offset:         36
        .size:           4
        .value_kind:     by_value
      - .offset:         40
        .size:           4
        .value_kind:     by_value
      - .offset:         44
        .size:           2
        .value_kind:     by_value
      - .address_space:  global
        .offset:         48
        .size:           8
        .value_kind:     global_buffer
      - .address_space:  global
        .offset:         56
        .size:           8
        .value_kind:     global_buffer
      - .offset:         64
        .size:           4
        .value_kind:     hidden_block_count_x
      - .offset:         68
        .size:           4
        .value_kind:     hidden_block_count_y
      - .offset:         72
        .size:           4
        .value_kind:     hidden_block_count_z
      - .offset:         76
        .size:           2
        .value_kind:     hidden_group_size_x
      - .offset:         78
        .size:           2
        .value_kind:     hidden_group_size_y
      - .offset:         80
        .size:           2
        .value_kind:     hidden_group_size_z
      - .offset:         82
        .size:           2
        .value_kind:     hidden_remainder_x
      - .offset:         84
        .size:           2
        .value_kind:     hidden_remainder_y
      - .offset:         86
        .size:           2
        .value_kind:     hidden_remainder_z
      - .offset:         104
        .size:           8
        .value_kind:     hidden_global_offset_x
      - .offset:         112
        .size:           8
        .value_kind:     hidden_global_offset_y
      - .offset:         120
        .size:           8
        .value_kind:     hidden_global_offset_z
      - .offset:         128
        .size:           2
        .value_kind:     hidden_grid_dims
    .group_segment_fixed_size: 8208
    .kernarg_segment_align: 8
    .kernarg_segment_size: 320
    .language:       OpenCL C
    .language_version:
      - 2
      - 0
    .max_flat_workgroup_size: 512
    .name:           _ZN7rocprim17ROCPRIM_304000_NS6detail35device_block_merge_mergepath_kernelINS1_37wrapped_merge_sort_block_merge_configINS0_14default_configEtN2at4cuda3cub6detail10OpaqueTypeILi8EEEEEPtSC_PSA_SD_jNS1_19radix_merge_compareILb1ELb1EtNS0_19identity_decomposerEEEEEvT0_T1_T2_T3_T4_SL_jT5_PKSL_NS1_7vsmem_tE
    .private_segment_fixed_size: 0
    .sgpr_count:     38
    .sgpr_spill_count: 0
    .symbol:         _ZN7rocprim17ROCPRIM_304000_NS6detail35device_block_merge_mergepath_kernelINS1_37wrapped_merge_sort_block_merge_configINS0_14default_configEtN2at4cuda3cub6detail10OpaqueTypeILi8EEEEEPtSC_PSA_SD_jNS1_19radix_merge_compareILb1ELb1EtNS0_19identity_decomposerEEEEEvT0_T1_T2_T3_T4_SL_jT5_PKSL_NS1_7vsmem_tE.kd
    .uniform_work_group_size: 1
    .uses_dynamic_stack: false
    .vgpr_count:     14
    .vgpr_spill_count: 0
    .wavefront_size: 64
  - .agpr_count:     0
    .args:
      - .address_space:  global
        .offset:         0
        .size:           8
        .value_kind:     global_buffer
      - .address_space:  global
        .offset:         8
        .size:           8
        .value_kind:     global_buffer
      - .address_space:  global
        .offset:         16
        .size:           8
        .value_kind:     global_buffer
      - .address_space:  global
        .offset:         24
        .size:           8
        .value_kind:     global_buffer
      - .offset:         32
        .size:           4
        .value_kind:     by_value
      - .offset:         36
        .size:           4
        .value_kind:     by_value
      - .offset:         40
        .size:           2
        .value_kind:     by_value
    .group_segment_fixed_size: 0
    .kernarg_segment_align: 8
    .kernarg_segment_size: 44
    .language:       OpenCL C
    .language_version:
      - 2
      - 0
    .max_flat_workgroup_size: 256
    .name:           _ZN7rocprim17ROCPRIM_304000_NS6detail33device_block_merge_oddeven_kernelINS1_37wrapped_merge_sort_block_merge_configINS0_14default_configEtN2at4cuda3cub6detail10OpaqueTypeILi8EEEEEPtSC_PSA_SD_jNS1_19radix_merge_compareILb1ELb1EtNS0_19identity_decomposerEEEEEvT0_T1_T2_T3_T4_SL_T5_
    .private_segment_fixed_size: 0
    .sgpr_count:     30
    .sgpr_spill_count: 0
    .symbol:         _ZN7rocprim17ROCPRIM_304000_NS6detail33device_block_merge_oddeven_kernelINS1_37wrapped_merge_sort_block_merge_configINS0_14default_configEtN2at4cuda3cub6detail10OpaqueTypeILi8EEEEEPtSC_PSA_SD_jNS1_19radix_merge_compareILb1ELb1EtNS0_19identity_decomposerEEEEEvT0_T1_T2_T3_T4_SL_T5_.kd
    .uniform_work_group_size: 1
    .uses_dynamic_stack: false
    .vgpr_count:     11
    .vgpr_spill_count: 0
    .wavefront_size: 64
  - .agpr_count:     0
    .args:
      - .address_space:  global
        .offset:         0
        .size:           8
        .value_kind:     global_buffer
      - .address_space:  global
        .offset:         8
        .size:           8
        .value_kind:     global_buffer
      - .offset:         16
        .size:           8
        .value_kind:     by_value
      - .offset:         24
        .size:           8
        .value_kind:     by_value
      - .offset:         32
        .size:           1
        .value_kind:     by_value
      - .offset:         36
        .size:           4
        .value_kind:     by_value
      - .offset:         40
        .size:           4
        .value_kind:     by_value
    .group_segment_fixed_size: 8192
    .kernarg_segment_align: 8
    .kernarg_segment_size: 44
    .language:       OpenCL C
    .language_version:
      - 2
      - 0
    .max_flat_workgroup_size: 256
    .name:           _ZN7rocprim17ROCPRIM_304000_NS6detail26onesweep_histograms_kernelINS1_34wrapped_radix_sort_onesweep_configINS0_14default_configEtN2at4cuda3cub6detail10OpaqueTypeILi8EEEEELb1EPKtmNS0_19identity_decomposerEEEvT1_PT2_SG_SG_T3_jj
    .private_segment_fixed_size: 0
    .sgpr_count:     62
    .sgpr_spill_count: 0
    .symbol:         _ZN7rocprim17ROCPRIM_304000_NS6detail26onesweep_histograms_kernelINS1_34wrapped_radix_sort_onesweep_configINS0_14default_configEtN2at4cuda3cub6detail10OpaqueTypeILi8EEEEELb1EPKtmNS0_19identity_decomposerEEEvT1_PT2_SG_SG_T3_jj.kd
    .uniform_work_group_size: 1
    .uses_dynamic_stack: false
    .vgpr_count:     30
    .vgpr_spill_count: 0
    .wavefront_size: 64
  - .agpr_count:     0
    .args:
      - .address_space:  global
        .offset:         0
        .size:           8
        .value_kind:     global_buffer
    .group_segment_fixed_size: 32
    .kernarg_segment_align: 8
    .kernarg_segment_size: 8
    .language:       OpenCL C
    .language_version:
      - 2
      - 0
    .max_flat_workgroup_size: 256
    .name:           _ZN7rocprim17ROCPRIM_304000_NS6detail31onesweep_scan_histograms_kernelINS1_34wrapped_radix_sort_onesweep_configINS0_14default_configEtN2at4cuda3cub6detail10OpaqueTypeILi8EEEEEmEEvPT0_
    .private_segment_fixed_size: 0
    .sgpr_count:     16
    .sgpr_spill_count: 0
    .symbol:         _ZN7rocprim17ROCPRIM_304000_NS6detail31onesweep_scan_histograms_kernelINS1_34wrapped_radix_sort_onesweep_configINS0_14default_configEtN2at4cuda3cub6detail10OpaqueTypeILi8EEEEEmEEvPT0_.kd
    .uniform_work_group_size: 1
    .uses_dynamic_stack: false
    .vgpr_count:     14
    .vgpr_spill_count: 0
    .wavefront_size: 64
  - .agpr_count:     0
    .args:
      - .address_space:  global
        .offset:         0
        .size:           8
        .value_kind:     global_buffer
      - .offset:         8
        .size:           8
        .value_kind:     by_value
      - .address_space:  global
        .offset:         16
        .size:           8
        .value_kind:     global_buffer
      - .offset:         24
        .size:           1
        .value_kind:     by_value
      - .offset:         32
        .size:           4
        .value_kind:     hidden_block_count_x
      - .offset:         36
        .size:           4
        .value_kind:     hidden_block_count_y
      - .offset:         40
        .size:           4
        .value_kind:     hidden_block_count_z
      - .offset:         44
        .size:           2
        .value_kind:     hidden_group_size_x
      - .offset:         46
        .size:           2
        .value_kind:     hidden_group_size_y
      - .offset:         48
        .size:           2
        .value_kind:     hidden_group_size_z
      - .offset:         50
        .size:           2
        .value_kind:     hidden_remainder_x
      - .offset:         52
        .size:           2
        .value_kind:     hidden_remainder_y
      - .offset:         54
        .size:           2
        .value_kind:     hidden_remainder_z
      - .offset:         72
        .size:           8
        .value_kind:     hidden_global_offset_x
      - .offset:         80
        .size:           8
        .value_kind:     hidden_global_offset_y
      - .offset:         88
        .size:           8
        .value_kind:     hidden_global_offset_z
      - .offset:         96
        .size:           2
        .value_kind:     hidden_grid_dims
    .group_segment_fixed_size: 0
    .kernarg_segment_align: 8
    .kernarg_segment_size: 288
    .language:       OpenCL C
    .language_version:
      - 2
      - 0
    .max_flat_workgroup_size: 128
    .name:           _ZN7rocprim17ROCPRIM_304000_NS6detail16transform_kernelINS1_24wrapped_transform_configINS0_14default_configEtEEtPKtPtNS0_8identityItEEEEvT1_mT2_T3_
    .private_segment_fixed_size: 0
    .sgpr_count:     21
    .sgpr_spill_count: 0
    .symbol:         _ZN7rocprim17ROCPRIM_304000_NS6detail16transform_kernelINS1_24wrapped_transform_configINS0_14default_configEtEEtPKtPtNS0_8identityItEEEEvT1_mT2_T3_.kd
    .uniform_work_group_size: 1
    .uses_dynamic_stack: false
    .vgpr_count:     10
    .vgpr_spill_count: 0
    .wavefront_size: 64
  - .agpr_count:     0
    .args:
      - .address_space:  global
        .offset:         0
        .size:           8
        .value_kind:     global_buffer
      - .offset:         8
        .size:           8
        .value_kind:     by_value
      - .address_space:  global
        .offset:         16
        .size:           8
        .value_kind:     global_buffer
      - .offset:         24
        .size:           1
        .value_kind:     by_value
      - .offset:         32
        .size:           4
        .value_kind:     hidden_block_count_x
      - .offset:         36
        .size:           4
        .value_kind:     hidden_block_count_y
      - .offset:         40
        .size:           4
        .value_kind:     hidden_block_count_z
      - .offset:         44
        .size:           2
        .value_kind:     hidden_group_size_x
      - .offset:         46
        .size:           2
        .value_kind:     hidden_group_size_y
      - .offset:         48
        .size:           2
        .value_kind:     hidden_group_size_z
      - .offset:         50
        .size:           2
        .value_kind:     hidden_remainder_x
      - .offset:         52
        .size:           2
        .value_kind:     hidden_remainder_y
      - .offset:         54
        .size:           2
        .value_kind:     hidden_remainder_z
      - .offset:         72
        .size:           8
        .value_kind:     hidden_global_offset_x
      - .offset:         80
        .size:           8
        .value_kind:     hidden_global_offset_y
      - .offset:         88
        .size:           8
        .value_kind:     hidden_global_offset_z
      - .offset:         96
        .size:           2
        .value_kind:     hidden_grid_dims
    .group_segment_fixed_size: 0
    .kernarg_segment_align: 8
    .kernarg_segment_size: 288
    .language:       OpenCL C
    .language_version:
      - 2
      - 0
    .max_flat_workgroup_size: 128
    .name:           _ZN7rocprim17ROCPRIM_304000_NS6detail16transform_kernelINS1_24wrapped_transform_configINS0_14default_configEN2at4cuda3cub6detail10OpaqueTypeILi8EEEEESA_PKSA_PSA_NS0_8identityISA_EEEEvT1_mT2_T3_
    .private_segment_fixed_size: 0
    .sgpr_count:     16
    .sgpr_spill_count: 0
    .symbol:         _ZN7rocprim17ROCPRIM_304000_NS6detail16transform_kernelINS1_24wrapped_transform_configINS0_14default_configEN2at4cuda3cub6detail10OpaqueTypeILi8EEEEESA_PKSA_PSA_NS0_8identityISA_EEEEvT1_mT2_T3_.kd
    .uniform_work_group_size: 1
    .uses_dynamic_stack: false
    .vgpr_count:     3
    .vgpr_spill_count: 0
    .wavefront_size: 64
  - .agpr_count:     0
    .args:
      - .address_space:  global
        .offset:         0
        .size:           8
        .value_kind:     global_buffer
      - .address_space:  global
        .offset:         8
        .size:           8
        .value_kind:     global_buffer
      - .address_space:  global
        .offset:         16
        .size:           8
        .value_kind:     global_buffer
      - .address_space:  global
        .offset:         24
        .size:           8
        .value_kind:     global_buffer
      - .offset:         32
        .size:           4
        .value_kind:     by_value
      - .address_space:  global
        .offset:         40
        .size:           8
        .value_kind:     global_buffer
      - .address_space:  global
        .offset:         48
        .size:           8
        .value_kind:     global_buffer
      - .address_space:  global
        .offset:         56
        .size:           8
        .value_kind:     global_buffer
      - .offset:         64
        .size:           1
        .value_kind:     by_value
      - .offset:         68
        .size:           4
        .value_kind:     by_value
      - .offset:         72
        .size:           4
        .value_kind:     by_value
      - .offset:         76
        .size:           4
        .value_kind:     by_value
      - .offset:         80
        .size:           4
        .value_kind:     hidden_block_count_x
      - .offset:         84
        .size:           4
        .value_kind:     hidden_block_count_y
      - .offset:         88
        .size:           4
        .value_kind:     hidden_block_count_z
      - .offset:         92
        .size:           2
        .value_kind:     hidden_group_size_x
      - .offset:         94
        .size:           2
        .value_kind:     hidden_group_size_y
      - .offset:         96
        .size:           2
        .value_kind:     hidden_group_size_z
      - .offset:         98
        .size:           2
        .value_kind:     hidden_remainder_x
      - .offset:         100
        .size:           2
        .value_kind:     hidden_remainder_y
      - .offset:         102
        .size:           2
        .value_kind:     hidden_remainder_z
      - .offset:         120
        .size:           8
        .value_kind:     hidden_global_offset_x
      - .offset:         128
        .size:           8
        .value_kind:     hidden_global_offset_y
      - .offset:         136
        .size:           8
        .value_kind:     hidden_global_offset_z
      - .offset:         144
        .size:           2
        .value_kind:     hidden_grid_dims
    .group_segment_fixed_size: 38912
    .kernarg_segment_align: 8
    .kernarg_segment_size: 336
    .language:       OpenCL C
    .language_version:
      - 2
      - 0
    .max_flat_workgroup_size: 256
    .name:           _ZN7rocprim17ROCPRIM_304000_NS6detail25onesweep_iteration_kernelINS1_34wrapped_radix_sort_onesweep_configINS0_14default_configEtN2at4cuda3cub6detail10OpaqueTypeILi8EEEEELb1EPKtPtPKSA_PSA_mNS0_19identity_decomposerEEEvT1_T2_T3_T4_jPT5_SO_PNS1_23onesweep_lookback_stateET6_jjj
    .private_segment_fixed_size: 0
    .sgpr_count:     103
    .sgpr_spill_count: 0
    .symbol:         _ZN7rocprim17ROCPRIM_304000_NS6detail25onesweep_iteration_kernelINS1_34wrapped_radix_sort_onesweep_configINS0_14default_configEtN2at4cuda3cub6detail10OpaqueTypeILi8EEEEELb1EPKtPtPKSA_PSA_mNS0_19identity_decomposerEEEvT1_T2_T3_T4_jPT5_SO_PNS1_23onesweep_lookback_stateET6_jjj.kd
    .uniform_work_group_size: 1
    .uses_dynamic_stack: false
    .vgpr_count:     100
    .vgpr_spill_count: 0
    .wavefront_size: 64
  - .agpr_count:     0
    .args:
      - .address_space:  global
        .offset:         0
        .size:           8
        .value_kind:     global_buffer
      - .address_space:  global
        .offset:         8
        .size:           8
        .value_kind:     global_buffer
      - .address_space:  global
        .offset:         16
        .size:           8
        .value_kind:     global_buffer
      - .address_space:  global
        .offset:         24
        .size:           8
        .value_kind:     global_buffer
      - .offset:         32
        .size:           4
        .value_kind:     by_value
      - .address_space:  global
        .offset:         40
        .size:           8
        .value_kind:     global_buffer
      - .address_space:  global
        .offset:         48
        .size:           8
        .value_kind:     global_buffer
      - .address_space:  global
        .offset:         56
        .size:           8
        .value_kind:     global_buffer
      - .offset:         64
        .size:           1
        .value_kind:     by_value
      - .offset:         68
        .size:           4
        .value_kind:     by_value
      - .offset:         72
        .size:           4
        .value_kind:     by_value
      - .offset:         76
        .size:           4
        .value_kind:     by_value
      - .offset:         80
        .size:           4
        .value_kind:     hidden_block_count_x
      - .offset:         84
        .size:           4
        .value_kind:     hidden_block_count_y
      - .offset:         88
        .size:           4
        .value_kind:     hidden_block_count_z
      - .offset:         92
        .size:           2
        .value_kind:     hidden_group_size_x
      - .offset:         94
        .size:           2
        .value_kind:     hidden_group_size_y
      - .offset:         96
        .size:           2
        .value_kind:     hidden_group_size_z
      - .offset:         98
        .size:           2
        .value_kind:     hidden_remainder_x
      - .offset:         100
        .size:           2
        .value_kind:     hidden_remainder_y
      - .offset:         102
        .size:           2
        .value_kind:     hidden_remainder_z
      - .offset:         120
        .size:           8
        .value_kind:     hidden_global_offset_x
      - .offset:         128
        .size:           8
        .value_kind:     hidden_global_offset_y
      - .offset:         136
        .size:           8
        .value_kind:     hidden_global_offset_z
      - .offset:         144
        .size:           2
        .value_kind:     hidden_grid_dims
    .group_segment_fixed_size: 38912
    .kernarg_segment_align: 8
    .kernarg_segment_size: 336
    .language:       OpenCL C
    .language_version:
      - 2
      - 0
    .max_flat_workgroup_size: 256
    .name:           _ZN7rocprim17ROCPRIM_304000_NS6detail25onesweep_iteration_kernelINS1_34wrapped_radix_sort_onesweep_configINS0_14default_configEtN2at4cuda3cub6detail10OpaqueTypeILi8EEEEELb1EPtSC_PSA_SD_mNS0_19identity_decomposerEEEvT1_T2_T3_T4_jPT5_SK_PNS1_23onesweep_lookback_stateET6_jjj
    .private_segment_fixed_size: 0
    .sgpr_count:     103
    .sgpr_spill_count: 0
    .symbol:         _ZN7rocprim17ROCPRIM_304000_NS6detail25onesweep_iteration_kernelINS1_34wrapped_radix_sort_onesweep_configINS0_14default_configEtN2at4cuda3cub6detail10OpaqueTypeILi8EEEEELb1EPtSC_PSA_SD_mNS0_19identity_decomposerEEEvT1_T2_T3_T4_jPT5_SK_PNS1_23onesweep_lookback_stateET6_jjj.kd
    .uniform_work_group_size: 1
    .uses_dynamic_stack: false
    .vgpr_count:     100
    .vgpr_spill_count: 0
    .wavefront_size: 64
  - .agpr_count:     0
    .args:
      - .address_space:  global
        .offset:         0
        .size:           8
        .value_kind:     global_buffer
      - .address_space:  global
        .offset:         8
        .size:           8
        .value_kind:     global_buffer
      - .address_space:  global
        .offset:         16
        .size:           8
        .value_kind:     global_buffer
      - .address_space:  global
        .offset:         24
        .size:           8
        .value_kind:     global_buffer
      - .offset:         32
        .size:           4
        .value_kind:     by_value
      - .offset:         36
        .size:           1
        .value_kind:     by_value
      - .offset:         40
        .size:           4
        .value_kind:     by_value
      - .offset:         44
        .size:           4
        .value_kind:     by_value
      - .offset:         48
        .size:           4
        .value_kind:     hidden_block_count_x
      - .offset:         52
        .size:           4
        .value_kind:     hidden_block_count_y
      - .offset:         56
        .size:           4
        .value_kind:     hidden_block_count_z
      - .offset:         60
        .size:           2
        .value_kind:     hidden_group_size_x
      - .offset:         62
        .size:           2
        .value_kind:     hidden_group_size_y
      - .offset:         64
        .size:           2
        .value_kind:     hidden_group_size_z
      - .offset:         66
        .size:           2
        .value_kind:     hidden_remainder_x
      - .offset:         68
        .size:           2
        .value_kind:     hidden_remainder_y
      - .offset:         70
        .size:           2
        .value_kind:     hidden_remainder_z
      - .offset:         88
        .size:           8
        .value_kind:     hidden_global_offset_x
      - .offset:         96
        .size:           8
        .value_kind:     hidden_global_offset_y
      - .offset:         104
        .size:           8
        .value_kind:     hidden_global_offset_z
      - .offset:         112
        .size:           2
        .value_kind:     hidden_grid_dims
    .group_segment_fixed_size: 8192
    .kernarg_segment_align: 8
    .kernarg_segment_size: 304
    .language:       OpenCL C
    .language_version:
      - 2
      - 0
    .max_flat_workgroup_size: 256
    .name:           _ZN7rocprim17ROCPRIM_304000_NS6detail28radix_sort_block_sort_kernelINS1_36wrapped_radix_sort_block_sort_configINS0_13kernel_configILj256ELj4ELj4294967295EEEtN2at4cuda3cub6detail10OpaqueTypeILi8EEEEELb0EPKtPtPKSB_PSB_NS0_19identity_decomposerEEEvT1_T2_T3_T4_jT5_jj
    .private_segment_fixed_size: 0
    .sgpr_count:     54
    .sgpr_spill_count: 0
    .symbol:         _ZN7rocprim17ROCPRIM_304000_NS6detail28radix_sort_block_sort_kernelINS1_36wrapped_radix_sort_block_sort_configINS0_13kernel_configILj256ELj4ELj4294967295EEEtN2at4cuda3cub6detail10OpaqueTypeILi8EEEEELb0EPKtPtPKSB_PSB_NS0_19identity_decomposerEEEvT1_T2_T3_T4_jT5_jj.kd
    .uniform_work_group_size: 1
    .uses_dynamic_stack: false
    .vgpr_count:     52
    .vgpr_spill_count: 0
    .wavefront_size: 64
  - .agpr_count:     0
    .args:
      - .address_space:  global
        .offset:         0
        .size:           8
        .value_kind:     global_buffer
      - .offset:         8
        .size:           4
        .value_kind:     by_value
      - .offset:         12
        .size:           4
        .value_kind:     by_value
      - .address_space:  global
        .offset:         16
        .size:           8
        .value_kind:     global_buffer
      - .offset:         24
        .size:           1
        .value_kind:     by_value
      - .offset:         28
        .size:           4
        .value_kind:     by_value
    .group_segment_fixed_size: 0
    .kernarg_segment_align: 8
    .kernarg_segment_size: 32
    .language:       OpenCL C
    .language_version:
      - 2
      - 0
    .max_flat_workgroup_size: 128
    .name:           _ZN7rocprim17ROCPRIM_304000_NS6detail45device_block_merge_mergepath_partition_kernelINS1_37wrapped_merge_sort_block_merge_configINS0_14default_configEtN2at4cuda3cub6detail10OpaqueTypeILi8EEEEEPtjNS1_19radix_merge_compareILb0ELb0EtNS0_19identity_decomposerEEEEEvT0_T1_jPSH_T2_SH_
    .private_segment_fixed_size: 0
    .sgpr_count:     12
    .sgpr_spill_count: 0
    .symbol:         _ZN7rocprim17ROCPRIM_304000_NS6detail45device_block_merge_mergepath_partition_kernelINS1_37wrapped_merge_sort_block_merge_configINS0_14default_configEtN2at4cuda3cub6detail10OpaqueTypeILi8EEEEEPtjNS1_19radix_merge_compareILb0ELb0EtNS0_19identity_decomposerEEEEEvT0_T1_jPSH_T2_SH_.kd
    .uniform_work_group_size: 1
    .uses_dynamic_stack: false
    .vgpr_count:     17
    .vgpr_spill_count: 0
    .wavefront_size: 64
  - .agpr_count:     0
    .args:
      - .address_space:  global
        .offset:         0
        .size:           8
        .value_kind:     global_buffer
      - .address_space:  global
        .offset:         8
        .size:           8
        .value_kind:     global_buffer
      - .address_space:  global
        .offset:         16
        .size:           8
        .value_kind:     global_buffer
      - .address_space:  global
        .offset:         24
        .size:           8
        .value_kind:     global_buffer
      - .offset:         32
        .size:           4
        .value_kind:     by_value
      - .offset:         36
        .size:           4
        .value_kind:     by_value
      - .offset:         40
        .size:           4
        .value_kind:     by_value
      - .offset:         44
        .size:           1
        .value_kind:     by_value
      - .address_space:  global
        .offset:         48
        .size:           8
        .value_kind:     global_buffer
      - .address_space:  global
        .offset:         56
        .size:           8
        .value_kind:     global_buffer
      - .offset:         64
        .size:           4
        .value_kind:     hidden_block_count_x
      - .offset:         68
        .size:           4
        .value_kind:     hidden_block_count_y
      - .offset:         72
        .size:           4
        .value_kind:     hidden_block_count_z
      - .offset:         76
        .size:           2
        .value_kind:     hidden_group_size_x
      - .offset:         78
        .size:           2
        .value_kind:     hidden_group_size_y
      - .offset:         80
        .size:           2
        .value_kind:     hidden_group_size_z
      - .offset:         82
        .size:           2
        .value_kind:     hidden_remainder_x
      - .offset:         84
        .size:           2
        .value_kind:     hidden_remainder_y
      - .offset:         86
        .size:           2
        .value_kind:     hidden_remainder_z
      - .offset:         104
        .size:           8
        .value_kind:     hidden_global_offset_x
      - .offset:         112
        .size:           8
        .value_kind:     hidden_global_offset_y
      - .offset:         120
        .size:           8
        .value_kind:     hidden_global_offset_z
      - .offset:         128
        .size:           2
        .value_kind:     hidden_grid_dims
    .group_segment_fixed_size: 8208
    .kernarg_segment_align: 8
    .kernarg_segment_size: 320
    .language:       OpenCL C
    .language_version:
      - 2
      - 0
    .max_flat_workgroup_size: 512
    .name:           _ZN7rocprim17ROCPRIM_304000_NS6detail35device_block_merge_mergepath_kernelINS1_37wrapped_merge_sort_block_merge_configINS0_14default_configEtN2at4cuda3cub6detail10OpaqueTypeILi8EEEEEPtSC_PSA_SD_jNS1_19radix_merge_compareILb0ELb0EtNS0_19identity_decomposerEEEEEvT0_T1_T2_T3_T4_SL_jT5_PKSL_NS1_7vsmem_tE
    .private_segment_fixed_size: 0
    .sgpr_count:     37
    .sgpr_spill_count: 0
    .symbol:         _ZN7rocprim17ROCPRIM_304000_NS6detail35device_block_merge_mergepath_kernelINS1_37wrapped_merge_sort_block_merge_configINS0_14default_configEtN2at4cuda3cub6detail10OpaqueTypeILi8EEEEEPtSC_PSA_SD_jNS1_19radix_merge_compareILb0ELb0EtNS0_19identity_decomposerEEEEEvT0_T1_T2_T3_T4_SL_jT5_PKSL_NS1_7vsmem_tE.kd
    .uniform_work_group_size: 1
    .uses_dynamic_stack: false
    .vgpr_count:     14
    .vgpr_spill_count: 0
    .wavefront_size: 64
  - .agpr_count:     0
    .args:
      - .address_space:  global
        .offset:         0
        .size:           8
        .value_kind:     global_buffer
      - .address_space:  global
        .offset:         8
        .size:           8
        .value_kind:     global_buffer
      - .address_space:  global
        .offset:         16
        .size:           8
        .value_kind:     global_buffer
      - .address_space:  global
        .offset:         24
        .size:           8
        .value_kind:     global_buffer
      - .offset:         32
        .size:           4
        .value_kind:     by_value
      - .offset:         36
        .size:           4
        .value_kind:     by_value
      - .offset:         40
        .size:           1
        .value_kind:     by_value
    .group_segment_fixed_size: 0
    .kernarg_segment_align: 8
    .kernarg_segment_size: 44
    .language:       OpenCL C
    .language_version:
      - 2
      - 0
    .max_flat_workgroup_size: 256
    .name:           _ZN7rocprim17ROCPRIM_304000_NS6detail33device_block_merge_oddeven_kernelINS1_37wrapped_merge_sort_block_merge_configINS0_14default_configEtN2at4cuda3cub6detail10OpaqueTypeILi8EEEEEPtSC_PSA_SD_jNS1_19radix_merge_compareILb0ELb0EtNS0_19identity_decomposerEEEEEvT0_T1_T2_T3_T4_SL_T5_
    .private_segment_fixed_size: 0
    .sgpr_count:     28
    .sgpr_spill_count: 0
    .symbol:         _ZN7rocprim17ROCPRIM_304000_NS6detail33device_block_merge_oddeven_kernelINS1_37wrapped_merge_sort_block_merge_configINS0_14default_configEtN2at4cuda3cub6detail10OpaqueTypeILi8EEEEEPtSC_PSA_SD_jNS1_19radix_merge_compareILb0ELb0EtNS0_19identity_decomposerEEEEEvT0_T1_T2_T3_T4_SL_T5_.kd
    .uniform_work_group_size: 1
    .uses_dynamic_stack: false
    .vgpr_count:     10
    .vgpr_spill_count: 0
    .wavefront_size: 64
  - .agpr_count:     0
    .args:
      - .address_space:  global
        .offset:         0
        .size:           8
        .value_kind:     global_buffer
      - .offset:         8
        .size:           4
        .value_kind:     by_value
      - .offset:         12
        .size:           4
        .value_kind:     by_value
      - .address_space:  global
        .offset:         16
        .size:           8
        .value_kind:     global_buffer
      - .offset:         24
        .size:           2
        .value_kind:     by_value
      - .offset:         28
        .size:           4
        .value_kind:     by_value
    .group_segment_fixed_size: 0
    .kernarg_segment_align: 8
    .kernarg_segment_size: 32
    .language:       OpenCL C
    .language_version:
      - 2
      - 0
    .max_flat_workgroup_size: 128
    .name:           _ZN7rocprim17ROCPRIM_304000_NS6detail45device_block_merge_mergepath_partition_kernelINS1_37wrapped_merge_sort_block_merge_configINS0_14default_configEtN2at4cuda3cub6detail10OpaqueTypeILi8EEEEEPtjNS1_19radix_merge_compareILb0ELb1EtNS0_19identity_decomposerEEEEEvT0_T1_jPSH_T2_SH_
    .private_segment_fixed_size: 0
    .sgpr_count:     14
    .sgpr_spill_count: 0
    .symbol:         _ZN7rocprim17ROCPRIM_304000_NS6detail45device_block_merge_mergepath_partition_kernelINS1_37wrapped_merge_sort_block_merge_configINS0_14default_configEtN2at4cuda3cub6detail10OpaqueTypeILi8EEEEEPtjNS1_19radix_merge_compareILb0ELb1EtNS0_19identity_decomposerEEEEEvT0_T1_jPSH_T2_SH_.kd
    .uniform_work_group_size: 1
    .uses_dynamic_stack: false
    .vgpr_count:     17
    .vgpr_spill_count: 0
    .wavefront_size: 64
  - .agpr_count:     0
    .args:
      - .address_space:  global
        .offset:         0
        .size:           8
        .value_kind:     global_buffer
      - .address_space:  global
        .offset:         8
        .size:           8
        .value_kind:     global_buffer
      - .address_space:  global
        .offset:         16
        .size:           8
        .value_kind:     global_buffer
      - .address_space:  global
        .offset:         24
        .size:           8
        .value_kind:     global_buffer
      - .offset:         32
        .size:           4
        .value_kind:     by_value
      - .offset:         36
        .size:           4
        .value_kind:     by_value
      - .offset:         40
        .size:           4
        .value_kind:     by_value
      - .offset:         44
        .size:           2
        .value_kind:     by_value
      - .address_space:  global
        .offset:         48
        .size:           8
        .value_kind:     global_buffer
      - .address_space:  global
        .offset:         56
        .size:           8
        .value_kind:     global_buffer
      - .offset:         64
        .size:           4
        .value_kind:     hidden_block_count_x
      - .offset:         68
        .size:           4
        .value_kind:     hidden_block_count_y
      - .offset:         72
        .size:           4
        .value_kind:     hidden_block_count_z
      - .offset:         76
        .size:           2
        .value_kind:     hidden_group_size_x
      - .offset:         78
        .size:           2
        .value_kind:     hidden_group_size_y
      - .offset:         80
        .size:           2
        .value_kind:     hidden_group_size_z
      - .offset:         82
        .size:           2
        .value_kind:     hidden_remainder_x
      - .offset:         84
        .size:           2
        .value_kind:     hidden_remainder_y
      - .offset:         86
        .size:           2
        .value_kind:     hidden_remainder_z
      - .offset:         104
        .size:           8
        .value_kind:     hidden_global_offset_x
      - .offset:         112
        .size:           8
        .value_kind:     hidden_global_offset_y
      - .offset:         120
        .size:           8
        .value_kind:     hidden_global_offset_z
      - .offset:         128
        .size:           2
        .value_kind:     hidden_grid_dims
    .group_segment_fixed_size: 8208
    .kernarg_segment_align: 8
    .kernarg_segment_size: 320
    .language:       OpenCL C
    .language_version:
      - 2
      - 0
    .max_flat_workgroup_size: 512
    .name:           _ZN7rocprim17ROCPRIM_304000_NS6detail35device_block_merge_mergepath_kernelINS1_37wrapped_merge_sort_block_merge_configINS0_14default_configEtN2at4cuda3cub6detail10OpaqueTypeILi8EEEEEPtSC_PSA_SD_jNS1_19radix_merge_compareILb0ELb1EtNS0_19identity_decomposerEEEEEvT0_T1_T2_T3_T4_SL_jT5_PKSL_NS1_7vsmem_tE
    .private_segment_fixed_size: 0
    .sgpr_count:     38
    .sgpr_spill_count: 0
    .symbol:         _ZN7rocprim17ROCPRIM_304000_NS6detail35device_block_merge_mergepath_kernelINS1_37wrapped_merge_sort_block_merge_configINS0_14default_configEtN2at4cuda3cub6detail10OpaqueTypeILi8EEEEEPtSC_PSA_SD_jNS1_19radix_merge_compareILb0ELb1EtNS0_19identity_decomposerEEEEEvT0_T1_T2_T3_T4_SL_jT5_PKSL_NS1_7vsmem_tE.kd
    .uniform_work_group_size: 1
    .uses_dynamic_stack: false
    .vgpr_count:     14
    .vgpr_spill_count: 0
    .wavefront_size: 64
  - .agpr_count:     0
    .args:
      - .address_space:  global
        .offset:         0
        .size:           8
        .value_kind:     global_buffer
      - .address_space:  global
        .offset:         8
        .size:           8
        .value_kind:     global_buffer
      - .address_space:  global
        .offset:         16
        .size:           8
        .value_kind:     global_buffer
      - .address_space:  global
        .offset:         24
        .size:           8
        .value_kind:     global_buffer
      - .offset:         32
        .size:           4
        .value_kind:     by_value
      - .offset:         36
        .size:           4
        .value_kind:     by_value
      - .offset:         40
        .size:           2
        .value_kind:     by_value
    .group_segment_fixed_size: 0
    .kernarg_segment_align: 8
    .kernarg_segment_size: 44
    .language:       OpenCL C
    .language_version:
      - 2
      - 0
    .max_flat_workgroup_size: 256
    .name:           _ZN7rocprim17ROCPRIM_304000_NS6detail33device_block_merge_oddeven_kernelINS1_37wrapped_merge_sort_block_merge_configINS0_14default_configEtN2at4cuda3cub6detail10OpaqueTypeILi8EEEEEPtSC_PSA_SD_jNS1_19radix_merge_compareILb0ELb1EtNS0_19identity_decomposerEEEEEvT0_T1_T2_T3_T4_SL_T5_
    .private_segment_fixed_size: 0
    .sgpr_count:     30
    .sgpr_spill_count: 0
    .symbol:         _ZN7rocprim17ROCPRIM_304000_NS6detail33device_block_merge_oddeven_kernelINS1_37wrapped_merge_sort_block_merge_configINS0_14default_configEtN2at4cuda3cub6detail10OpaqueTypeILi8EEEEEPtSC_PSA_SD_jNS1_19radix_merge_compareILb0ELb1EtNS0_19identity_decomposerEEEEEvT0_T1_T2_T3_T4_SL_T5_.kd
    .uniform_work_group_size: 1
    .uses_dynamic_stack: false
    .vgpr_count:     11
    .vgpr_spill_count: 0
    .wavefront_size: 64
  - .agpr_count:     0
    .args:
      - .address_space:  global
        .offset:         0
        .size:           8
        .value_kind:     global_buffer
      - .address_space:  global
        .offset:         8
        .size:           8
        .value_kind:     global_buffer
      - .offset:         16
        .size:           8
        .value_kind:     by_value
      - .offset:         24
        .size:           8
        .value_kind:     by_value
      - .offset:         32
        .size:           1
        .value_kind:     by_value
      - .offset:         36
        .size:           4
        .value_kind:     by_value
      - .offset:         40
        .size:           4
        .value_kind:     by_value
    .group_segment_fixed_size: 8192
    .kernarg_segment_align: 8
    .kernarg_segment_size: 44
    .language:       OpenCL C
    .language_version:
      - 2
      - 0
    .max_flat_workgroup_size: 256
    .name:           _ZN7rocprim17ROCPRIM_304000_NS6detail26onesweep_histograms_kernelINS1_34wrapped_radix_sort_onesweep_configINS0_14default_configEtN2at4cuda3cub6detail10OpaqueTypeILi8EEEEELb0EPKtmNS0_19identity_decomposerEEEvT1_PT2_SG_SG_T3_jj
    .private_segment_fixed_size: 0
    .sgpr_count:     62
    .sgpr_spill_count: 0
    .symbol:         _ZN7rocprim17ROCPRIM_304000_NS6detail26onesweep_histograms_kernelINS1_34wrapped_radix_sort_onesweep_configINS0_14default_configEtN2at4cuda3cub6detail10OpaqueTypeILi8EEEEELb0EPKtmNS0_19identity_decomposerEEEvT1_PT2_SG_SG_T3_jj.kd
    .uniform_work_group_size: 1
    .uses_dynamic_stack: false
    .vgpr_count:     30
    .vgpr_spill_count: 0
    .wavefront_size: 64
  - .agpr_count:     0
    .args:
      - .address_space:  global
        .offset:         0
        .size:           8
        .value_kind:     global_buffer
      - .address_space:  global
        .offset:         8
        .size:           8
        .value_kind:     global_buffer
      - .address_space:  global
        .offset:         16
        .size:           8
        .value_kind:     global_buffer
      - .address_space:  global
        .offset:         24
        .size:           8
        .value_kind:     global_buffer
      - .offset:         32
        .size:           4
        .value_kind:     by_value
      - .address_space:  global
        .offset:         40
        .size:           8
        .value_kind:     global_buffer
      - .address_space:  global
        .offset:         48
        .size:           8
        .value_kind:     global_buffer
      - .address_space:  global
        .offset:         56
        .size:           8
        .value_kind:     global_buffer
      - .offset:         64
        .size:           1
        .value_kind:     by_value
      - .offset:         68
        .size:           4
        .value_kind:     by_value
      - .offset:         72
        .size:           4
        .value_kind:     by_value
      - .offset:         76
        .size:           4
        .value_kind:     by_value
      - .offset:         80
        .size:           4
        .value_kind:     hidden_block_count_x
      - .offset:         84
        .size:           4
        .value_kind:     hidden_block_count_y
      - .offset:         88
        .size:           4
        .value_kind:     hidden_block_count_z
      - .offset:         92
        .size:           2
        .value_kind:     hidden_group_size_x
      - .offset:         94
        .size:           2
        .value_kind:     hidden_group_size_y
      - .offset:         96
        .size:           2
        .value_kind:     hidden_group_size_z
      - .offset:         98
        .size:           2
        .value_kind:     hidden_remainder_x
      - .offset:         100
        .size:           2
        .value_kind:     hidden_remainder_y
      - .offset:         102
        .size:           2
        .value_kind:     hidden_remainder_z
      - .offset:         120
        .size:           8
        .value_kind:     hidden_global_offset_x
      - .offset:         128
        .size:           8
        .value_kind:     hidden_global_offset_y
      - .offset:         136
        .size:           8
        .value_kind:     hidden_global_offset_z
      - .offset:         144
        .size:           2
        .value_kind:     hidden_grid_dims
    .group_segment_fixed_size: 38912
    .kernarg_segment_align: 8
    .kernarg_segment_size: 336
    .language:       OpenCL C
    .language_version:
      - 2
      - 0
    .max_flat_workgroup_size: 256
    .name:           _ZN7rocprim17ROCPRIM_304000_NS6detail25onesweep_iteration_kernelINS1_34wrapped_radix_sort_onesweep_configINS0_14default_configEtN2at4cuda3cub6detail10OpaqueTypeILi8EEEEELb0EPKtPtPKSA_PSA_mNS0_19identity_decomposerEEEvT1_T2_T3_T4_jPT5_SO_PNS1_23onesweep_lookback_stateET6_jjj
    .private_segment_fixed_size: 0
    .sgpr_count:     103
    .sgpr_spill_count: 0
    .symbol:         _ZN7rocprim17ROCPRIM_304000_NS6detail25onesweep_iteration_kernelINS1_34wrapped_radix_sort_onesweep_configINS0_14default_configEtN2at4cuda3cub6detail10OpaqueTypeILi8EEEEELb0EPKtPtPKSA_PSA_mNS0_19identity_decomposerEEEvT1_T2_T3_T4_jPT5_SO_PNS1_23onesweep_lookback_stateET6_jjj.kd
    .uniform_work_group_size: 1
    .uses_dynamic_stack: false
    .vgpr_count:     101
    .vgpr_spill_count: 0
    .wavefront_size: 64
  - .agpr_count:     0
    .args:
      - .address_space:  global
        .offset:         0
        .size:           8
        .value_kind:     global_buffer
      - .address_space:  global
        .offset:         8
        .size:           8
        .value_kind:     global_buffer
      - .address_space:  global
        .offset:         16
        .size:           8
        .value_kind:     global_buffer
      - .address_space:  global
        .offset:         24
        .size:           8
        .value_kind:     global_buffer
      - .offset:         32
        .size:           4
        .value_kind:     by_value
      - .address_space:  global
        .offset:         40
        .size:           8
        .value_kind:     global_buffer
      - .address_space:  global
        .offset:         48
        .size:           8
        .value_kind:     global_buffer
      - .address_space:  global
        .offset:         56
        .size:           8
        .value_kind:     global_buffer
      - .offset:         64
        .size:           1
        .value_kind:     by_value
      - .offset:         68
        .size:           4
        .value_kind:     by_value
      - .offset:         72
        .size:           4
        .value_kind:     by_value
      - .offset:         76
        .size:           4
        .value_kind:     by_value
      - .offset:         80
        .size:           4
        .value_kind:     hidden_block_count_x
      - .offset:         84
        .size:           4
        .value_kind:     hidden_block_count_y
      - .offset:         88
        .size:           4
        .value_kind:     hidden_block_count_z
      - .offset:         92
        .size:           2
        .value_kind:     hidden_group_size_x
      - .offset:         94
        .size:           2
        .value_kind:     hidden_group_size_y
      - .offset:         96
        .size:           2
        .value_kind:     hidden_group_size_z
      - .offset:         98
        .size:           2
        .value_kind:     hidden_remainder_x
      - .offset:         100
        .size:           2
        .value_kind:     hidden_remainder_y
      - .offset:         102
        .size:           2
        .value_kind:     hidden_remainder_z
      - .offset:         120
        .size:           8
        .value_kind:     hidden_global_offset_x
      - .offset:         128
        .size:           8
        .value_kind:     hidden_global_offset_y
      - .offset:         136
        .size:           8
        .value_kind:     hidden_global_offset_z
      - .offset:         144
        .size:           2
        .value_kind:     hidden_grid_dims
    .group_segment_fixed_size: 38912
    .kernarg_segment_align: 8
    .kernarg_segment_size: 336
    .language:       OpenCL C
    .language_version:
      - 2
      - 0
    .max_flat_workgroup_size: 256
    .name:           _ZN7rocprim17ROCPRIM_304000_NS6detail25onesweep_iteration_kernelINS1_34wrapped_radix_sort_onesweep_configINS0_14default_configEtN2at4cuda3cub6detail10OpaqueTypeILi8EEEEELb0EPtSC_PSA_SD_mNS0_19identity_decomposerEEEvT1_T2_T3_T4_jPT5_SK_PNS1_23onesweep_lookback_stateET6_jjj
    .private_segment_fixed_size: 0
    .sgpr_count:     103
    .sgpr_spill_count: 0
    .symbol:         _ZN7rocprim17ROCPRIM_304000_NS6detail25onesweep_iteration_kernelINS1_34wrapped_radix_sort_onesweep_configINS0_14default_configEtN2at4cuda3cub6detail10OpaqueTypeILi8EEEEELb0EPtSC_PSA_SD_mNS0_19identity_decomposerEEEvT1_T2_T3_T4_jPT5_SK_PNS1_23onesweep_lookback_stateET6_jjj.kd
    .uniform_work_group_size: 1
    .uses_dynamic_stack: false
    .vgpr_count:     101
    .vgpr_spill_count: 0
    .wavefront_size: 64
amdhsa.target:   amdgcn-amd-amdhsa--gfx950
amdhsa.version:
  - 1
  - 2
...

	.end_amdgpu_metadata
